;; amdgpu-corpus repo=ROCm/rocFFT kind=compiled arch=gfx1030 opt=O3
	.text
	.amdgcn_target "amdgcn-amd-amdhsa--gfx1030"
	.amdhsa_code_object_version 6
	.protected	fft_rtc_fwd_len2401_factors_7_7_7_7_wgs_49_tpt_49_halfLds_half_ip_CI_unitstride_sbrr_dirReg ; -- Begin function fft_rtc_fwd_len2401_factors_7_7_7_7_wgs_49_tpt_49_halfLds_half_ip_CI_unitstride_sbrr_dirReg
	.globl	fft_rtc_fwd_len2401_factors_7_7_7_7_wgs_49_tpt_49_halfLds_half_ip_CI_unitstride_sbrr_dirReg
	.p2align	8
	.type	fft_rtc_fwd_len2401_factors_7_7_7_7_wgs_49_tpt_49_halfLds_half_ip_CI_unitstride_sbrr_dirReg,@function
fft_rtc_fwd_len2401_factors_7_7_7_7_wgs_49_tpt_49_halfLds_half_ip_CI_unitstride_sbrr_dirReg: ; @fft_rtc_fwd_len2401_factors_7_7_7_7_wgs_49_tpt_49_halfLds_half_ip_CI_unitstride_sbrr_dirReg
; %bb.0:
	s_clause 0x2
	s_load_dwordx4 s[8:11], s[4:5], 0x0
	s_load_dwordx2 s[2:3], s[4:5], 0x50
	s_load_dwordx2 s[12:13], s[4:5], 0x18
	v_mul_u32_u24_e32 v1, 0x53a, v0
	v_mov_b32_e32 v3, 0
	v_add_nc_u32_sdwa v5, s6, v1 dst_sel:DWORD dst_unused:UNUSED_PAD src0_sel:DWORD src1_sel:WORD_1
	v_mov_b32_e32 v1, 0
	v_mov_b32_e32 v6, v3
	v_mov_b32_e32 v2, 0
	s_waitcnt lgkmcnt(0)
	v_cmp_lt_u64_e64 s0, s[10:11], 2
	s_and_b32 vcc_lo, exec_lo, s0
	s_cbranch_vccnz .LBB0_8
; %bb.1:
	s_load_dwordx2 s[0:1], s[4:5], 0x10
	v_mov_b32_e32 v1, 0
	s_add_u32 s6, s12, 8
	v_mov_b32_e32 v2, 0
	s_addc_u32 s7, s13, 0
	s_mov_b64 s[16:17], 1
	s_waitcnt lgkmcnt(0)
	s_add_u32 s14, s0, 8
	s_addc_u32 s15, s1, 0
.LBB0_2:                                ; =>This Inner Loop Header: Depth=1
	s_load_dwordx2 s[18:19], s[14:15], 0x0
                                        ; implicit-def: $vgpr7_vgpr8
	s_mov_b32 s0, exec_lo
	s_waitcnt lgkmcnt(0)
	v_or_b32_e32 v4, s19, v6
	v_cmpx_ne_u64_e32 0, v[3:4]
	s_xor_b32 s1, exec_lo, s0
	s_cbranch_execz .LBB0_4
; %bb.3:                                ;   in Loop: Header=BB0_2 Depth=1
	v_cvt_f32_u32_e32 v4, s18
	v_cvt_f32_u32_e32 v7, s19
	s_sub_u32 s0, 0, s18
	s_subb_u32 s20, 0, s19
	v_fmac_f32_e32 v4, 0x4f800000, v7
	v_rcp_f32_e32 v4, v4
	v_mul_f32_e32 v4, 0x5f7ffffc, v4
	v_mul_f32_e32 v7, 0x2f800000, v4
	v_trunc_f32_e32 v7, v7
	v_fmac_f32_e32 v4, 0xcf800000, v7
	v_cvt_u32_f32_e32 v7, v7
	v_cvt_u32_f32_e32 v4, v4
	v_mul_lo_u32 v8, s0, v7
	v_mul_hi_u32 v9, s0, v4
	v_mul_lo_u32 v10, s20, v4
	v_add_nc_u32_e32 v8, v9, v8
	v_mul_lo_u32 v9, s0, v4
	v_add_nc_u32_e32 v8, v8, v10
	v_mul_hi_u32 v10, v4, v9
	v_mul_lo_u32 v11, v4, v8
	v_mul_hi_u32 v12, v4, v8
	v_mul_hi_u32 v13, v7, v9
	v_mul_lo_u32 v9, v7, v9
	v_mul_hi_u32 v14, v7, v8
	v_mul_lo_u32 v8, v7, v8
	v_add_co_u32 v10, vcc_lo, v10, v11
	v_add_co_ci_u32_e32 v11, vcc_lo, 0, v12, vcc_lo
	v_add_co_u32 v9, vcc_lo, v10, v9
	v_add_co_ci_u32_e32 v9, vcc_lo, v11, v13, vcc_lo
	v_add_co_ci_u32_e32 v10, vcc_lo, 0, v14, vcc_lo
	v_add_co_u32 v8, vcc_lo, v9, v8
	v_add_co_ci_u32_e32 v9, vcc_lo, 0, v10, vcc_lo
	v_add_co_u32 v4, vcc_lo, v4, v8
	v_add_co_ci_u32_e32 v7, vcc_lo, v7, v9, vcc_lo
	v_mul_hi_u32 v8, s0, v4
	v_mul_lo_u32 v10, s20, v4
	v_mul_lo_u32 v9, s0, v7
	v_add_nc_u32_e32 v8, v8, v9
	v_mul_lo_u32 v9, s0, v4
	v_add_nc_u32_e32 v8, v8, v10
	v_mul_hi_u32 v10, v4, v9
	v_mul_lo_u32 v11, v4, v8
	v_mul_hi_u32 v12, v4, v8
	v_mul_hi_u32 v13, v7, v9
	v_mul_lo_u32 v9, v7, v9
	v_mul_hi_u32 v14, v7, v8
	v_mul_lo_u32 v8, v7, v8
	v_add_co_u32 v10, vcc_lo, v10, v11
	v_add_co_ci_u32_e32 v11, vcc_lo, 0, v12, vcc_lo
	v_add_co_u32 v9, vcc_lo, v10, v9
	v_add_co_ci_u32_e32 v9, vcc_lo, v11, v13, vcc_lo
	v_add_co_ci_u32_e32 v10, vcc_lo, 0, v14, vcc_lo
	v_add_co_u32 v8, vcc_lo, v9, v8
	v_add_co_ci_u32_e32 v9, vcc_lo, 0, v10, vcc_lo
	v_add_co_u32 v4, vcc_lo, v4, v8
	v_add_co_ci_u32_e32 v11, vcc_lo, v7, v9, vcc_lo
	v_mul_hi_u32 v13, v5, v4
	v_mad_u64_u32 v[9:10], null, v6, v4, 0
	v_mad_u64_u32 v[7:8], null, v5, v11, 0
	;; [unrolled: 1-line block ×3, first 2 shown]
	v_add_co_u32 v4, vcc_lo, v13, v7
	v_add_co_ci_u32_e32 v7, vcc_lo, 0, v8, vcc_lo
	v_add_co_u32 v4, vcc_lo, v4, v9
	v_add_co_ci_u32_e32 v4, vcc_lo, v7, v10, vcc_lo
	v_add_co_ci_u32_e32 v7, vcc_lo, 0, v12, vcc_lo
	v_add_co_u32 v4, vcc_lo, v4, v11
	v_add_co_ci_u32_e32 v9, vcc_lo, 0, v7, vcc_lo
	v_mul_lo_u32 v10, s19, v4
	v_mad_u64_u32 v[7:8], null, s18, v4, 0
	v_mul_lo_u32 v11, s18, v9
	v_sub_co_u32 v7, vcc_lo, v5, v7
	v_add3_u32 v8, v8, v11, v10
	v_sub_nc_u32_e32 v10, v6, v8
	v_subrev_co_ci_u32_e64 v10, s0, s19, v10, vcc_lo
	v_add_co_u32 v11, s0, v4, 2
	v_add_co_ci_u32_e64 v12, s0, 0, v9, s0
	v_sub_co_u32 v13, s0, v7, s18
	v_sub_co_ci_u32_e32 v8, vcc_lo, v6, v8, vcc_lo
	v_subrev_co_ci_u32_e64 v10, s0, 0, v10, s0
	v_cmp_le_u32_e32 vcc_lo, s18, v13
	v_cmp_eq_u32_e64 s0, s19, v8
	v_cndmask_b32_e64 v13, 0, -1, vcc_lo
	v_cmp_le_u32_e32 vcc_lo, s19, v10
	v_cndmask_b32_e64 v14, 0, -1, vcc_lo
	v_cmp_le_u32_e32 vcc_lo, s18, v7
	;; [unrolled: 2-line block ×3, first 2 shown]
	v_cndmask_b32_e64 v15, 0, -1, vcc_lo
	v_cmp_eq_u32_e32 vcc_lo, s19, v10
	v_cndmask_b32_e64 v7, v15, v7, s0
	v_cndmask_b32_e32 v10, v14, v13, vcc_lo
	v_add_co_u32 v13, vcc_lo, v4, 1
	v_add_co_ci_u32_e32 v14, vcc_lo, 0, v9, vcc_lo
	v_cmp_ne_u32_e32 vcc_lo, 0, v10
	v_cndmask_b32_e32 v8, v14, v12, vcc_lo
	v_cndmask_b32_e32 v10, v13, v11, vcc_lo
	v_cmp_ne_u32_e32 vcc_lo, 0, v7
	v_cndmask_b32_e32 v8, v9, v8, vcc_lo
	v_cndmask_b32_e32 v7, v4, v10, vcc_lo
.LBB0_4:                                ;   in Loop: Header=BB0_2 Depth=1
	s_andn2_saveexec_b32 s0, s1
	s_cbranch_execz .LBB0_6
; %bb.5:                                ;   in Loop: Header=BB0_2 Depth=1
	v_cvt_f32_u32_e32 v4, s18
	s_sub_i32 s1, 0, s18
	v_rcp_iflag_f32_e32 v4, v4
	v_mul_f32_e32 v4, 0x4f7ffffe, v4
	v_cvt_u32_f32_e32 v4, v4
	v_mul_lo_u32 v7, s1, v4
	v_mul_hi_u32 v7, v4, v7
	v_add_nc_u32_e32 v4, v4, v7
	v_mul_hi_u32 v4, v5, v4
	v_mul_lo_u32 v7, v4, s18
	v_add_nc_u32_e32 v8, 1, v4
	v_sub_nc_u32_e32 v7, v5, v7
	v_subrev_nc_u32_e32 v9, s18, v7
	v_cmp_le_u32_e32 vcc_lo, s18, v7
	v_cndmask_b32_e32 v7, v7, v9, vcc_lo
	v_cndmask_b32_e32 v4, v4, v8, vcc_lo
	v_cmp_le_u32_e32 vcc_lo, s18, v7
	v_add_nc_u32_e32 v8, 1, v4
	v_cndmask_b32_e32 v7, v4, v8, vcc_lo
	v_mov_b32_e32 v8, v3
.LBB0_6:                                ;   in Loop: Header=BB0_2 Depth=1
	s_or_b32 exec_lo, exec_lo, s0
	s_load_dwordx2 s[0:1], s[6:7], 0x0
	v_mul_lo_u32 v4, v8, s18
	v_mul_lo_u32 v11, v7, s19
	v_mad_u64_u32 v[9:10], null, v7, s18, 0
	s_add_u32 s16, s16, 1
	s_addc_u32 s17, s17, 0
	s_add_u32 s6, s6, 8
	s_addc_u32 s7, s7, 0
	;; [unrolled: 2-line block ×3, first 2 shown]
	v_add3_u32 v4, v10, v11, v4
	v_sub_co_u32 v5, vcc_lo, v5, v9
	v_sub_co_ci_u32_e32 v4, vcc_lo, v6, v4, vcc_lo
	s_waitcnt lgkmcnt(0)
	v_mul_lo_u32 v6, s1, v5
	v_mul_lo_u32 v4, s0, v4
	v_mad_u64_u32 v[1:2], null, s0, v5, v[1:2]
	v_cmp_ge_u64_e64 s0, s[16:17], s[10:11]
	s_and_b32 vcc_lo, exec_lo, s0
	v_add3_u32 v2, v6, v2, v4
	s_cbranch_vccnz .LBB0_9
; %bb.7:                                ;   in Loop: Header=BB0_2 Depth=1
	v_mov_b32_e32 v5, v7
	v_mov_b32_e32 v6, v8
	s_branch .LBB0_2
.LBB0_8:
	v_mov_b32_e32 v8, v6
	v_mov_b32_e32 v7, v5
.LBB0_9:
	s_lshl_b64 s[0:1], s[10:11], 3
	v_mul_hi_u32 v10, 0x539782a, v0
	s_add_u32 s0, s12, s0
	s_addc_u32 s1, s13, s1
	v_mov_b32_e32 v47, 0
	s_load_dwordx2 s[0:1], s[0:1], 0x0
	s_load_dwordx2 s[4:5], s[4:5], 0x20
	v_mov_b32_e32 v29, 0
	v_mov_b32_e32 v38, 0
	;; [unrolled: 1-line block ×3, first 2 shown]
	v_mul_u32_u24_e32 v10, 49, v10
	v_mov_b32_e32 v27, 0
	v_mov_b32_e32 v22, 0
	;; [unrolled: 1-line block ×14, first 2 shown]
	s_waitcnt lgkmcnt(0)
	v_mul_lo_u32 v11, s0, v8
	v_mul_lo_u32 v13, s1, v7
	v_mad_u64_u32 v[1:2], null, s0, v7, v[1:2]
	v_cmp_gt_u64_e32 vcc_lo, s[4:5], v[7:8]
	v_mov_b32_e32 v62, 0
	v_mov_b32_e32 v36, 0
	v_mov_b32_e32 v61, 0
	v_mov_b32_e32 v25, 0
	v_mov_b32_e32 v60, 0
	v_add3_u32 v2, v13, v2, v11
	v_mov_b32_e32 v18, 0
	v_sub_nc_u32_e32 v28, v0, v10
	v_mov_b32_e32 v56, 0
	v_mov_b32_e32 v11, 0
	v_lshlrev_b64 v[30:31], 2, v[1:2]
	v_mov_b32_e32 v54, 0
	v_mov_b32_e32 v1, 0
                                        ; implicit-def: $vgpr0
                                        ; implicit-def: $vgpr2
                                        ; implicit-def: $vgpr7
                                        ; implicit-def: $vgpr13
                                        ; implicit-def: $vgpr15
                                        ; implicit-def: $vgpr21
                                        ; implicit-def: $vgpr23
                                        ; implicit-def: $vgpr32
                                        ; implicit-def: $vgpr34
                                        ; implicit-def: $vgpr39
                                        ; implicit-def: $vgpr42
                                        ; implicit-def: $vgpr44
                                        ; implicit-def: $vgpr48
                                        ; implicit-def: $vgpr51
                                        ; implicit-def: $vgpr50
                                        ; implicit-def: $vgpr52
                                        ; implicit-def: $vgpr45
                                        ; implicit-def: $vgpr46
                                        ; implicit-def: $vgpr40
                                        ; implicit-def: $vgpr41
                                        ; implicit-def: $vgpr35
                                        ; implicit-def: $vgpr37
                                        ; implicit-def: $vgpr24
                                        ; implicit-def: $vgpr26
                                        ; implicit-def: $vgpr16
                                        ; implicit-def: $vgpr17
                                        ; implicit-def: $vgpr8
                                        ; implicit-def: $vgpr10
	s_and_saveexec_b32 s1, vcc_lo
	s_cbranch_execz .LBB0_11
; %bb.10:
	v_mov_b32_e32 v29, 0
	v_add_co_u32 v2, s0, s2, v30
	v_add_co_ci_u32_e64 v3, s0, s3, v31, s0
	v_lshlrev_b64 v[0:1], 2, v[28:29]
	v_add_co_u32 v2, s0, v2, v0
	v_add_co_ci_u32_e64 v3, s0, v3, v1, s0
	v_add_co_u32 v16, s0, 0x800, v2
	v_add_co_ci_u32_e64 v17, s0, 0, v3, s0
	v_add_co_u32 v0, s0, 0x1000, v2
	v_add_co_ci_u32_e64 v1, s0, 0, v3, s0
	v_add_co_u32 v39, s0, 0x1800, v2
	v_add_co_ci_u32_e64 v40, s0, 0, v3, s0
	v_add_co_u32 v43, s0, 0x2000, v2
	v_add_co_ci_u32_e64 v44, s0, 0, v3, s0
	s_clause 0x30
	global_load_dword v8, v[0:1], off offset:20
	global_load_dword v10, v[0:1], off offset:216
	;; [unrolled: 1-line block ×10, first 2 shown]
	global_load_dword v29, v[2:3], off
	global_load_dword v33, v[2:3], off offset:196
	global_load_dword v22, v[2:3], off offset:392
	;; [unrolled: 1-line block ×38, first 2 shown]
	s_waitcnt vmcnt(43)
	v_lshrrev_b32_e32 v51, 16, v26
	s_waitcnt vmcnt(42)
	v_lshrrev_b32_e32 v44, 16, v35
	;; [unrolled: 2-line block ×5, first 2 shown]
	v_perm_b32 v50, v26, v8, 0x5040100
	v_perm_b32 v45, v35, v10, 0x5040100
	v_perm_b32 v40, v37, v24, 0x5040100
	s_waitcnt vmcnt(32)
	v_lshrrev_b32_e32 v13, 16, v58
	s_waitcnt vmcnt(31)
	v_perm_b32 v41, v34, v24, 0x7060302
	s_waitcnt vmcnt(27)
	v_perm_b32 v46, v42, v10, 0x7060302
	;; [unrolled: 2-line block ×3, first 2 shown]
	s_waitcnt vmcnt(25)
	v_lshrrev_b32_e32 v2, 16, v59
	s_waitcnt vmcnt(15)
	v_perm_b32 v35, v55, v63, 0x5040100
	v_perm_b32 v37, v23, v63, 0x7060302
	s_waitcnt vmcnt(14)
	v_perm_b32 v24, v57, v64, 0x5040100
	v_perm_b32 v26, v15, v64, 0x7060302
	;; [unrolled: 3-line block ×3, first 2 shown]
	s_waitcnt vmcnt(8)
	v_perm_b32 v8, v59, v66, 0x5040100
	s_waitcnt vmcnt(7)
	v_perm_b32 v10, v0, v66, 0x7060302
.LBB0_11:
	s_or_b32 exec_lo, exec_lo, s1
	s_waitcnt vmcnt(3)
	v_perm_b32 v55, v49, v53, 0x5040100
	v_add_f16_e32 v58, v48, v47
	v_perm_b32 v57, v47, v53, 0x7060302
	v_sub_f16_sdwa v59, v49, v51 dst_sel:DWORD dst_unused:UNUSED_PAD src0_sel:WORD_1 src1_sel:DWORD
	v_perm_b32 v53, v43, v19, 0x5040100
	v_pk_add_f16 v63, v50, v55
	v_perm_b32 v69, v38, v19, 0x7060302
	v_pk_add_f16 v65, v57, v52 neg_lo:[0,1] neg_hi:[0,1]
	v_add_f16_e32 v64, v42, v38
	v_pk_add_f16 v71, v45, v53
	v_alignbit_b32 v19, v58, v63, 16
	v_add_f16_sdwa v66, v58, v63 dst_sel:DWORD dst_unused:UNUSED_PAD src0_sel:DWORD src1_sel:WORD_1
	v_sub_f16_e32 v58, v58, v63
	v_pack_b32_f16 v67, v59, v65
	v_sub_f16_sdwa v68, v59, v65 dst_sel:DWORD dst_unused:UNUSED_PAD src0_sel:DWORD src1_sel:WORD_1
	v_pk_add_f16 v19, v63, v19 neg_lo:[0,1] neg_hi:[0,1]
	v_add_f16_e32 v59, v59, v65
	v_add_f16_e32 v63, v66, v63
	v_pk_add_f16 v66, v65, v67 neg_lo:[0,1] neg_hi:[0,1]
	v_mul_f16_e32 v67, 0x3b00, v68
	v_mul_f16_e32 v68, 0xba52, v58
	v_pk_mul_f16 v70, 0x39e02b26, v19
	v_add_f16_sdwa v65, v65, v59 dst_sel:DWORD dst_unused:UNUSED_PAD src0_sel:WORD_1 src1_sel:DWORD
	v_perm_b32 v103, v36, v62, 0x5040100
	v_pk_fma_f16 v59, 0x3574b846, v66, v67 op_sel_hi:[1,1,0] neg_lo:[0,1,0] neg_hi:[0,1,1]
	v_add_f16_e32 v67, v63, v29
	v_alignbit_b32 v68, v68, v70, 16
	v_pk_mul_f16 v66, 0x3574b846, v66
	v_mul_f16_e32 v72, 0x370e, v65
	v_fmamk_f16 v70, v58, 0x3a52, v70
	v_fmamk_f16 v63, v63, 0xbcab, v67
	v_pk_fma_f16 v19, 0x39e02b26, v19, v68 neg_lo:[0,1,0] neg_hi:[0,1,0]
	v_add_f16_sdwa v58, v66, v66 dst_sel:DWORD dst_unused:UNUSED_PAD src0_sel:WORD_1 src1_sel:DWORD
	v_alignbit_b32 v66, v64, v71, 16
	v_pk_add_f16 v68, v59, v72 op_sel_hi:[1,0]
	v_add_f16_e32 v59, v70, v63
	v_pk_add_f16 v19, v19, v63 op_sel_hi:[1,0]
	v_fmac_f16_e32 v58, 0x370e, v65
	v_sub_f16_sdwa v63, v43, v44 dst_sel:DWORD dst_unused:UNUSED_PAD src0_sel:WORD_1 src1_sel:DWORD
	v_pk_add_f16 v65, v69, v46 neg_lo:[0,1] neg_hi:[0,1]
	v_sub_f16_e32 v70, v64, v71
	v_pk_add_f16 v66, v71, v66 neg_lo:[0,1] neg_hi:[0,1]
	v_add_f16_sdwa v64, v64, v71 dst_sel:DWORD dst_unused:UNUSED_PAD src0_sel:DWORD src1_sel:WORD_1
	v_pk_add_f16 v72, v19, v68
	v_pack_b32_f16 v73, v63, v65
	v_mul_f16_e32 v74, 0xba52, v70
	v_pk_mul_f16 v75, 0x39e02b26, v66
	v_sub_f16_sdwa v76, v63, v65 dst_sel:DWORD dst_unused:UNUSED_PAD src0_sel:DWORD src1_sel:WORD_1
	v_add_f16_e32 v63, v63, v65
	v_add_f16_e32 v64, v64, v71
	v_pk_add_f16 v71, v65, v73 neg_lo:[0,1] neg_hi:[0,1]
	v_alignbit_b32 v73, v74, v75, 16
	v_mul_f16_e32 v74, 0x3b00, v76
	v_add_f16_sdwa v76, v65, v63 dst_sel:DWORD dst_unused:UNUSED_PAD src0_sel:WORD_1 src1_sel:DWORD
	v_add_f16_e32 v77, v64, v33
	v_add_f16_e32 v63, v59, v58
	v_pk_fma_f16 v65, 0x39e02b26, v66, v73 neg_lo:[0,1,0] neg_hi:[0,1,0]
	v_pk_fma_f16 v66, 0x3574b846, v71, v74 op_sel_hi:[1,1,0] neg_lo:[0,1,0] neg_hi:[0,1,1]
	v_mul_f16_e32 v73, 0x370e, v76
	v_fmamk_f16 v74, v64, 0xbcab, v77
	v_pk_add_f16 v19, v19, v68 neg_lo:[0,1] neg_hi:[0,1]
	v_pack_b32_f16 v63, v67, v63
	v_perm_b32 v104, v27, v62, 0x7060302
	v_pk_add_f16 v66, v66, v73 op_sel_hi:[1,0]
	v_pk_add_f16 v67, v65, v74 op_sel_hi:[1,0]
	v_bfi_b32 v65, 0xffff, v72, v19
	v_alignbit_b32 v64, v19, v72, 16
	v_add_f16_e32 v72, v34, v27
	v_pk_add_f16 v73, v40, v103
	v_mad_u32_u24 v19, v28, 14, 0
	v_pk_add_f16 v68, v67, v66
	v_pk_add_f16 v66, v67, v66 neg_lo:[0,1] neg_hi:[0,1]
	v_perm_b32 v105, v25, v61, 0x5040100
	v_alignbit_b32 v62, v72, v73, 16
	ds_write_b96 v19, v[63:65]
	v_fmamk_f16 v63, v70, 0x3a52, v75
	v_bfi_b32 v67, 0xffff, v68, v66
	v_alignbit_b32 v66, v66, v68, 16
	v_sub_f16_sdwa v64, v36, v39 dst_sel:DWORD dst_unused:UNUSED_PAD src0_sel:WORD_1 src1_sel:DWORD
	v_pk_add_f16 v65, v104, v41 neg_lo:[0,1] neg_hi:[0,1]
	v_sub_f16_e32 v68, v72, v73
	v_pk_add_f16 v70, v73, v62 neg_lo:[0,1] neg_hi:[0,1]
	v_pk_mul_f16 v62, 0x3574b846, v71
	v_add_f16_sdwa v71, v72, v73 dst_sel:DWORD dst_unused:UNUSED_PAD src0_sel:DWORD src1_sel:WORD_1
	v_pack_b32_f16 v72, v64, v65
	v_mul_f16_e32 v75, 0xba52, v68
	v_pk_mul_f16 v78, 0x39e02b26, v70
	v_sub_f16_sdwa v79, v64, v65 dst_sel:DWORD dst_unused:UNUSED_PAD src0_sel:DWORD src1_sel:WORD_1
	v_add_f16_e32 v64, v64, v65
	v_add_f16_e32 v71, v71, v73
	v_pk_add_f16 v72, v65, v72 neg_lo:[0,1] neg_hi:[0,1]
	v_alignbit_b32 v73, v75, v78, 16
	v_mul_f16_e32 v75, 0x3b00, v79
	v_add_f16_sdwa v65, v65, v64 dst_sel:DWORD dst_unused:UNUSED_PAD src0_sel:WORD_1 src1_sel:DWORD
	v_add_f16_e32 v79, v71, v22
	v_add_f16_e32 v63, v63, v74
	v_pk_fma_f16 v64, 0x39e02b26, v70, v73 neg_lo:[0,1,0] neg_hi:[0,1,0]
	v_pk_fma_f16 v70, 0x3574b846, v72, v75 op_sel_hi:[1,1,0] neg_lo:[0,1,0] neg_hi:[0,1,1]
	v_mul_f16_e32 v73, 0x370e, v65
	v_fmamk_f16 v71, v71, 0xbcab, v79
	v_pk_add_f16 v74, v35, v105
	v_perm_b32 v106, v20, v61, 0x7060302
	v_add_f16_sdwa v62, v62, v62 dst_sel:DWORD dst_unused:UNUSED_PAD src0_sel:WORD_1 src1_sel:DWORD
	v_pk_add_f16 v70, v70, v73 op_sel_hi:[1,0]
	v_pk_add_f16 v73, v64, v71 op_sel_hi:[1,0]
	v_fmamk_f16 v64, v68, 0x3a52, v78
	v_add_f16_e32 v68, v23, v20
	v_pk_add_f16 v78, v106, v37 neg_lo:[0,1] neg_hi:[0,1]
	v_fmac_f16_e32 v62, 0x370e, v76
	v_pk_add_f16 v76, v73, v70
	v_add_f16_e32 v61, v64, v71
	v_alignbit_b32 v64, v68, v74, 16
	v_pk_mul_f16 v71, 0x3574b846, v72
	v_sub_f16_sdwa v72, v25, v32 dst_sel:DWORD dst_unused:UNUSED_PAD src0_sel:WORD_1 src1_sel:DWORD
	v_sub_f16_e32 v80, v68, v74
	v_add_f16_sdwa v68, v68, v74 dst_sel:DWORD dst_unused:UNUSED_PAD src0_sel:DWORD src1_sel:WORD_1
	v_pk_add_f16 v81, v74, v64 neg_lo:[0,1] neg_hi:[0,1]
	v_add_f16_sdwa v64, v71, v71 dst_sel:DWORD dst_unused:UNUSED_PAD src0_sel:WORD_1 src1_sel:DWORD
	v_pack_b32_f16 v71, v72, v78
	v_mul_f16_e32 v82, 0xba52, v80
	v_sub_f16_sdwa v84, v72, v78 dst_sel:DWORD dst_unused:UNUSED_PAD src0_sel:DWORD src1_sel:WORD_1
	v_pk_mul_f16 v83, 0x39e02b26, v81
	v_add_f16_e32 v72, v72, v78
	v_add_f16_e32 v68, v68, v74
	v_pk_add_f16 v74, v78, v71 neg_lo:[0,1] neg_hi:[0,1]
	v_fmac_f16_e32 v64, 0x370e, v65
	v_alignbit_b32 v71, v82, v83, 16
	v_mul_f16_e32 v82, 0x3b00, v84
	v_add_f16_sdwa v78, v78, v72 dst_sel:DWORD dst_unused:UNUSED_PAD src0_sel:WORD_1 src1_sel:DWORD
	v_add_f16_e32 v84, v68, v14
	v_add_f16_e32 v75, v63, v62
	v_pk_fma_f16 v71, 0x39e02b26, v81, v71 neg_lo:[0,1,0] neg_hi:[0,1,0]
	v_pk_fma_f16 v72, 0x3574b846, v74, v82 op_sel_hi:[1,1,0] neg_lo:[0,1,0] neg_hi:[0,1,1]
	v_mul_f16_e32 v81, 0x370e, v78
	v_fmamk_f16 v68, v68, 0xbcab, v84
	v_pk_add_f16 v70, v73, v70 neg_lo:[0,1] neg_hi:[0,1]
	v_add_f16_e32 v73, v61, v64
	v_pack_b32_f16 v65, v77, v75
	v_pk_add_f16 v75, v72, v81 op_sel_hi:[1,0]
	v_pk_add_f16 v77, v71, v68 op_sel_hi:[1,0]
	v_bfi_b32 v72, 0xffff, v76, v70
	v_alignbit_b32 v71, v70, v76, 16
	v_pack_b32_f16 v70, v79, v73
	v_perm_b32 v107, v18, v60, 0x5040100
	ds_write_b96 v19, v[65:67] offset:686
	v_pk_add_f16 v65, v77, v75
	v_pk_add_f16 v66, v77, v75 neg_lo:[0,1] neg_hi:[0,1]
	ds_write_b96 v19, v[70:72] offset:1372
	v_add_f16_e32 v71, v15, v12
	v_pk_add_f16 v72, v24, v107
	v_fmamk_f16 v70, v80, 0x3a52, v83
	v_bfi_b32 v67, 0xffff, v65, v66
	v_alignbit_b32 v66, v66, v65, 16
	v_perm_b32 v108, v12, v60, 0x7060302
	v_alignbit_b32 v65, v71, v72, 16
	v_add_f16_e32 v60, v70, v68
	v_pk_mul_f16 v68, 0x3574b846, v74
	v_sub_f16_sdwa v70, v18, v21 dst_sel:DWORD dst_unused:UNUSED_PAD src0_sel:WORD_1 src1_sel:DWORD
	v_pk_add_f16 v73, v108, v26 neg_lo:[0,1] neg_hi:[0,1]
	v_sub_f16_e32 v74, v71, v72
	v_pk_add_f16 v65, v72, v65 neg_lo:[0,1] neg_hi:[0,1]
	v_add_f16_sdwa v71, v71, v72 dst_sel:DWORD dst_unused:UNUSED_PAD src0_sel:DWORD src1_sel:WORD_1
	v_add_f16_sdwa v68, v68, v68 dst_sel:DWORD dst_unused:UNUSED_PAD src0_sel:WORD_1 src1_sel:DWORD
	v_pack_b32_f16 v75, v70, v73
	v_mul_f16_e32 v76, 0xba52, v74
	v_pk_mul_f16 v77, 0x39e02b26, v65
	v_sub_f16_sdwa v79, v70, v73 dst_sel:DWORD dst_unused:UNUSED_PAD src0_sel:DWORD src1_sel:WORD_1
	v_add_f16_e32 v70, v70, v73
	v_add_f16_e32 v71, v71, v72
	v_pk_add_f16 v72, v73, v75 neg_lo:[0,1] neg_hi:[0,1]
	v_alignbit_b32 v75, v76, v77, 16
	v_mul_f16_e32 v76, 0x3b00, v79
	v_add_f16_sdwa v70, v73, v70 dst_sel:DWORD dst_unused:UNUSED_PAD src0_sel:WORD_1 src1_sel:DWORD
	v_add_f16_e32 v73, v71, v9
	v_fmac_f16_e32 v68, 0x370e, v78
	v_pk_fma_f16 v65, 0x39e02b26, v65, v75 neg_lo:[0,1,0] neg_hi:[0,1,0]
	v_pk_fma_f16 v75, 0x3574b846, v72, v76 op_sel_hi:[1,1,0] neg_lo:[0,1,0] neg_hi:[0,1,1]
	v_mul_f16_e32 v76, 0x370e, v70
	v_pk_mul_f16 v72, 0x3574b846, v72
	v_fmamk_f16 v71, v71, 0xbcab, v73
	v_add_f16_e32 v78, v60, v68
	v_fmamk_f16 v74, v74, 0x3a52, v77
	v_pk_add_f16 v75, v75, v76 op_sel_hi:[1,0]
	v_add_f16_sdwa v76, v72, v72 dst_sel:DWORD dst_unused:UNUSED_PAD src0_sel:WORD_1 src1_sel:DWORD
	v_pk_add_f16 v72, v65, v71 op_sel_hi:[1,0]
	v_perm_b32 v109, v11, v56, 0x5040100
	v_pack_b32_f16 v65, v84, v78
	v_add_f16_e32 v74, v74, v71
	v_fmac_f16_e32 v76, 0x370e, v70
	v_pk_add_f16 v70, v72, v75
	v_pk_add_f16 v71, v72, v75 neg_lo:[0,1] neg_hi:[0,1]
	v_add_f16_e32 v72, v7, v6
	v_pk_add_f16 v75, v16, v109
	v_add_f16_e32 v77, v74, v76
	ds_write_b96 v19, v[65:67] offset:2058
	v_bfi_b32 v67, 0xffff, v70, v71
	v_alignbit_b32 v66, v71, v70, 16
	v_alignbit_b32 v70, v72, v75, 16
	v_perm_b32 v110, v6, v56, 0x7060302
	v_pack_b32_f16 v65, v73, v77
	v_add_f16_sdwa v56, v72, v75 dst_sel:DWORD dst_unused:UNUSED_PAD src0_sel:DWORD src1_sel:WORD_1
	v_sub_f16_e32 v71, v72, v75
	v_pk_add_f16 v70, v75, v70 neg_lo:[0,1] neg_hi:[0,1]
	v_sub_f16_sdwa v72, v11, v13 dst_sel:DWORD dst_unused:UNUSED_PAD src0_sel:WORD_1 src1_sel:DWORD
	v_pk_add_f16 v73, v110, v17 neg_lo:[0,1] neg_hi:[0,1]
	ds_write_b96 v19, v[65:67] offset:2744
	v_mul_f16_e32 v65, 0xba52, v71
	v_pk_mul_f16 v66, 0x39e02b26, v70
	v_add_f16_e32 v56, v56, v75
	v_pack_b32_f16 v67, v72, v73
	v_add_f16_e32 v77, v72, v73
	v_sub_f16_sdwa v72, v72, v73 dst_sel:DWORD dst_unused:UNUSED_PAD src0_sel:DWORD src1_sel:WORD_1
	v_alignbit_b32 v65, v65, v66, 16
	v_add_f16_e32 v75, v56, v4
	v_pk_add_f16 v67, v73, v67 neg_lo:[0,1] neg_hi:[0,1]
	v_fmamk_f16 v66, v71, 0x3a52, v66
	v_add_f16_sdwa v71, v73, v77 dst_sel:DWORD dst_unused:UNUSED_PAD src0_sel:WORD_1 src1_sel:DWORD
	v_mul_f16_e32 v72, 0x3b00, v72
	v_pk_fma_f16 v65, 0x39e02b26, v70, v65 neg_lo:[0,1,0] neg_hi:[0,1,0]
	s_waitcnt vmcnt(0)
	v_perm_b32 v111, v1, v54, 0x5040100
	v_pk_mul_f16 v70, 0x3574b846, v67
	v_fmamk_f16 v56, v56, 0xbcab, v75
	v_pk_fma_f16 v67, 0x3574b846, v67, v72 op_sel_hi:[1,1,0] neg_lo:[0,1,0] neg_hi:[0,1,1]
	v_mul_f16_e32 v72, 0x370e, v71
	v_add_f16_e32 v73, v0, v5
	v_pk_add_f16 v77, v8, v111
	v_add_f16_sdwa v70, v70, v70 dst_sel:DWORD dst_unused:UNUSED_PAD src0_sel:WORD_1 src1_sel:DWORD
	v_perm_b32 v112, v5, v54, 0x7060302
	v_add_f16_e32 v66, v66, v56
	v_pk_add_f16 v56, v65, v56 op_sel_hi:[1,0]
	v_pk_add_f16 v54, v67, v72 op_sel_hi:[1,0]
	v_alignbit_b32 v65, v73, v77, 16
	v_fmac_f16_e32 v70, 0x370e, v71
	v_sub_f16_sdwa v67, v1, v2 dst_sel:DWORD dst_unused:UNUSED_PAD src0_sel:WORD_1 src1_sel:DWORD
	v_pk_add_f16 v71, v112, v10 neg_lo:[0,1] neg_hi:[0,1]
	v_sub_f16_e32 v72, v73, v77
	v_add_f16_sdwa v73, v73, v77 dst_sel:DWORD dst_unused:UNUSED_PAD src0_sel:DWORD src1_sel:WORD_1
	v_pk_add_f16 v65, v77, v65 neg_lo:[0,1] neg_hi:[0,1]
	v_pk_add_f16 v78, v56, v54
	v_pack_b32_f16 v79, v67, v71
	v_mul_f16_e32 v80, 0xba52, v72
	v_add_f16_e32 v73, v73, v77
	v_pk_mul_f16 v81, 0x39e02b26, v65
	v_sub_f16_sdwa v77, v67, v71 dst_sel:DWORD dst_unused:UNUSED_PAD src0_sel:DWORD src1_sel:WORD_1
	v_pk_add_f16 v79, v71, v79 neg_lo:[0,1] neg_hi:[0,1]
	v_add_f16_e32 v67, v67, v71
	v_add_f16_e32 v82, v73, v3
	v_alignbit_b32 v80, v80, v81, 16
	v_mul_f16_e32 v77, 0x3b00, v77
	v_pk_add_f16 v54, v56, v54 neg_lo:[0,1] neg_hi:[0,1]
	v_add_f16_sdwa v56, v71, v67 dst_sel:DWORD dst_unused:UNUSED_PAD src0_sel:WORD_1 src1_sel:DWORD
	v_fmamk_f16 v67, v73, 0xbcab, v82
	v_pk_mul_f16 v73, 0x3574b846, v79
	v_pk_fma_f16 v65, 0x39e02b26, v65, v80 neg_lo:[0,1,0] neg_hi:[0,1,0]
	v_pk_fma_f16 v71, 0x3574b846, v79, v77 op_sel_hi:[1,1,0] neg_lo:[0,1,0] neg_hi:[0,1,1]
	v_mul_f16_e32 v77, 0x370e, v56
	v_fmamk_f16 v72, v72, 0x3a52, v81
	v_add_f16_sdwa v73, v73, v73 dst_sel:DWORD dst_unused:UNUSED_PAD src0_sel:WORD_1 src1_sel:DWORD
	v_add_f16_e32 v79, v66, v70
	v_pk_add_f16 v80, v65, v67 op_sel_hi:[1,0]
	v_pk_add_f16 v71, v71, v77 op_sel_hi:[1,0]
	v_sub_f16_e32 v66, v66, v70
	v_add_f16_e32 v67, v72, v67
	v_fmac_f16_e32 v73, 0x370e, v56
	v_add_f16_sdwa v49, v51, v49 dst_sel:DWORD dst_unused:UNUSED_PAD src0_sel:DWORD src1_sel:WORD_1
	v_pk_add_f16 v51, v52, v57
	v_pk_add_f16 v56, v80, v71
	v_pk_add_f16 v71, v80, v71 neg_lo:[0,1] neg_hi:[0,1]
	v_add_f16_e32 v52, v67, v73
	v_sub_f16_e32 v57, v67, v73
	v_alignbit_b32 v67, v66, v54, 16
	v_pack_b32_f16 v66, v54, v78
	v_add_f16_sdwa v54, v51, v49 dst_sel:DWORD dst_unused:UNUSED_PAD src0_sel:WORD_1 src1_sel:DWORD
	v_sub_f16_e32 v47, v47, v48
	v_pk_add_f16 v50, v55, v50 neg_lo:[0,1] neg_hi:[0,1]
	v_bfi_b32 v70, 0xffff, v52, v56
	v_alignbit_b32 v72, v57, v71, 16
	v_add_f16_e32 v48, v54, v51
	v_sub_f16_sdwa v52, v49, v51 dst_sel:DWORD dst_unused:UNUSED_PAD src0_sel:DWORD src1_sel:WORD_1
	v_sub_f16_sdwa v54, v51, v51 dst_sel:DWORD dst_unused:UNUSED_PAD src0_sel:WORD_1 src1_sel:DWORD
	v_sub_f16_e32 v49, v51, v49
	v_add_f16_sdwa v51, v50, v50 dst_sel:DWORD dst_unused:UNUSED_PAD src0_sel:WORD_1 src1_sel:DWORD
	v_sub_f16_sdwa v55, v50, v47 dst_sel:DWORD dst_unused:UNUSED_PAD src0_sel:WORD_1 src1_sel:DWORD
	v_sub_f16_e32 v57, v47, v50
	v_sub_f16_sdwa v50, v50, v50 dst_sel:DWORD dst_unused:UNUSED_PAD src0_sel:DWORD src1_sel:WORD_1
	v_pack_b32_f16 v71, v71, v56
	v_add_f16_sdwa v29, v48, v29 dst_sel:DWORD dst_unused:UNUSED_PAD src0_sel:DWORD src1_sel:WORD_1
	v_mul_f16_e32 v56, 0x3a52, v54
	v_mul_f16_e32 v73, 0x3b00, v55
	;; [unrolled: 1-line block ×4, first 2 shown]
	v_fmamk_f16 v48, v48, 0xbcab, v29
	v_fma_f16 v56, v52, 0xb9e0, -v56
	v_add_f16_e32 v51, v47, v51
	v_fma_f16 v73, v57, 0xb574, -v73
	v_fma_f16 v52, v52, 0x39e0, -v49
	;; [unrolled: 1-line block ×3, first 2 shown]
	v_fmamk_f16 v49, v54, 0x3a52, v49
	v_fmamk_f16 v47, v57, 0x3574, v50
	v_add_f16_e32 v56, v56, v48
	v_fmac_f16_e32 v73, 0x370e, v51
	v_add_f16_e32 v50, v52, v48
	v_fmac_f16_e32 v55, 0x370e, v51
	;; [unrolled: 2-line block ×3, first 2 shown]
	v_sub_f16_e32 v49, v56, v73
	v_add_f16_sdwa v43, v44, v43 dst_sel:DWORD dst_unused:UNUSED_PAD src0_sel:DWORD src1_sel:WORD_1
	v_sub_f16_e32 v52, v50, v55
	v_add_f16_e32 v50, v55, v50
	v_sub_f16_e32 v54, v48, v47
	v_pk_add_f16 v44, v46, v69
	v_add_f16_e32 v51, v73, v56
	v_bfi_b32 v65, 0xffff, v79, v78
	v_pack_b32_f16 v50, v49, v50
	v_pack_b32_f16 v49, v29, v54
	v_sub_f16_e32 v29, v59, v58
	v_add_f16_sdwa v46, v44, v43 dst_sel:DWORD dst_unused:UNUSED_PAD src0_sel:WORD_1 src1_sel:DWORD
	v_pk_add_f16 v45, v53, v45 neg_lo:[0,1] neg_hi:[0,1]
	v_sub_f16_e32 v38, v38, v42
	v_pack_b32_f16 v51, v52, v51
	v_sub_f16_e32 v52, v63, v62
	v_sub_f16_e32 v54, v61, v64
	;; [unrolled: 1-line block ×4, first 2 shown]
	ds_write_b96 v19, v[65:67] offset:3432
	ds_write_b96 v19, v[70:72] offset:4118
	ds_write_b16 v19, v29 offset:12
	ds_write_b16 v19, v52 offset:698
	;; [unrolled: 1-line block ×6, first 2 shown]
	v_add_f16_e32 v42, v46, v44
	v_sub_f16_sdwa v46, v43, v44 dst_sel:DWORD dst_unused:UNUSED_PAD src0_sel:DWORD src1_sel:WORD_1
	v_add_f16_sdwa v52, v45, v45 dst_sel:DWORD dst_unused:UNUSED_PAD src0_sel:WORD_1 src1_sel:DWORD
	v_sub_f16_e32 v43, v44, v43
	v_sub_f16_sdwa v44, v44, v44 dst_sel:DWORD dst_unused:UNUSED_PAD src0_sel:WORD_1 src1_sel:DWORD
	v_sub_f16_sdwa v53, v45, v38 dst_sel:DWORD dst_unused:UNUSED_PAD src0_sel:WORD_1 src1_sel:DWORD
	v_sub_f16_sdwa v113, v45, v45 dst_sel:DWORD dst_unused:UNUSED_PAD src0_sel:DWORD src1_sel:WORD_1
	v_add_f16_sdwa v33, v42, v33 dst_sel:DWORD dst_unused:UNUSED_PAD src0_sel:DWORD src1_sel:WORD_1
	v_add_f16_e32 v52, v38, v52
	v_sub_f16_e32 v38, v38, v45
	v_mul_f16_e32 v45, 0x3a52, v44
	v_mul_f16_e32 v114, 0x3b00, v53
	;; [unrolled: 1-line block ×4, first 2 shown]
	v_fmamk_f16 v42, v42, 0xbcab, v33
	v_fma_f16 v45, v46, 0xb9e0, -v45
	v_fma_f16 v114, v38, 0xb574, -v114
	;; [unrolled: 1-line block ×4, first 2 shown]
	v_lshl_add_u32 v29, v28, 1, 0
	v_add_f16_e32 v45, v45, v42
	v_fmac_f16_e32 v114, 0x370e, v52
	v_add_f16_e32 v46, v46, v42
	v_fmac_f16_e32 v53, 0x370e, v52
	ds_write_b16 v19, v82 offset:4116
	s_waitcnt lgkmcnt(0)
	s_barrier
	buffer_gl0_inv
	ds_read_u16 v88, v29 offset:2254
	ds_read_u16 v89, v29 offset:2940
	;; [unrolled: 1-line block ×6, first 2 shown]
	ds_read_u16 v60, v29
	ds_read_u16 v59, v29 offset:98
	ds_read_u16 v58, v29 offset:196
	;; [unrolled: 1-line block ×42, first 2 shown]
	s_waitcnt lgkmcnt(0)
	s_barrier
	buffer_gl0_inv
	ds_write_b96 v19, v[49:51]
	v_sub_f16_e32 v49, v45, v114
	v_add_f16_e32 v45, v114, v45
	v_sub_f16_e32 v50, v46, v53
	v_add_f16_sdwa v36, v39, v36 dst_sel:DWORD dst_unused:UNUSED_PAD src0_sel:DWORD src1_sel:WORD_1
	v_pk_add_f16 v39, v41, v104
	v_fmamk_f16 v43, v44, 0x3a52, v43
	v_pk_add_f16 v40, v103, v40 neg_lo:[0,1] neg_hi:[0,1]
	v_pack_b32_f16 v41, v50, v45
	v_sub_f16_e32 v27, v27, v34
	v_add_f16_sdwa v45, v39, v36 dst_sel:DWORD dst_unused:UNUSED_PAD src0_sel:WORD_1 src1_sel:DWORD
	v_add_f16_e32 v44, v53, v46
	v_add_f16_e32 v42, v43, v42
	v_sub_f16_sdwa v43, v36, v39 dst_sel:DWORD dst_unused:UNUSED_PAD src0_sel:DWORD src1_sel:WORD_1
	v_sub_f16_e32 v36, v39, v36
	v_add_f16_e32 v34, v45, v39
	v_add_f16_sdwa v45, v40, v40 dst_sel:DWORD dst_unused:UNUSED_PAD src0_sel:WORD_1 src1_sel:DWORD
	v_sub_f16_sdwa v46, v39, v39 dst_sel:DWORD dst_unused:UNUSED_PAD src0_sel:WORD_1 src1_sel:DWORD
	v_sub_f16_sdwa v39, v40, v27 dst_sel:DWORD dst_unused:UNUSED_PAD src0_sel:WORD_1 src1_sel:DWORD
	v_sub_f16_sdwa v50, v40, v40 dst_sel:DWORD dst_unused:UNUSED_PAD src0_sel:DWORD src1_sel:WORD_1
	v_fmamk_f16 v38, v38, 0x3574, v113
	v_add_f16_sdwa v22, v34, v22 dst_sel:DWORD dst_unused:UNUSED_PAD src0_sel:DWORD src1_sel:WORD_1
	v_add_f16_e32 v45, v27, v45
	v_sub_f16_e32 v27, v27, v40
	v_mul_f16_e32 v40, 0x3a52, v46
	v_mul_f16_e32 v51, 0x3b00, v39
	;; [unrolled: 1-line block ×4, first 2 shown]
	v_fmac_f16_e32 v38, 0x370e, v52
	v_fmamk_f16 v34, v34, 0xbcab, v22
	v_fma_f16 v40, v43, 0xb9e0, -v40
	v_fma_f16 v51, v27, 0xb574, -v51
	;; [unrolled: 1-line block ×4, first 2 shown]
	v_add_f16_sdwa v25, v32, v25 dst_sel:DWORD dst_unused:UNUSED_PAD src0_sel:DWORD src1_sel:WORD_1
	v_add_f16_e32 v53, v40, v34
	v_fmac_f16_e32 v51, 0x370e, v45
	v_add_f16_e32 v43, v43, v34
	v_fmac_f16_e32 v52, 0x370e, v45
	v_pk_add_f16 v32, v37, v106
	v_pack_b32_f16 v40, v49, v44
	v_add_f16_e32 v44, v51, v53
	v_fmamk_f16 v36, v46, 0x3a52, v36
	v_sub_f16_e32 v49, v43, v52
	v_fmamk_f16 v27, v27, 0x3574, v50
	v_add_f16_e32 v37, v52, v43
	v_add_f16_sdwa v43, v32, v25 dst_sel:DWORD dst_unused:UNUSED_PAD src0_sel:WORD_1 src1_sel:DWORD
	v_pk_add_f16 v35, v105, v35 neg_lo:[0,1] neg_hi:[0,1]
	v_sub_f16_e32 v20, v20, v23
	v_sub_f16_e32 v39, v42, v38
	v_add_f16_e32 v36, v36, v34
	v_fmac_f16_e32 v27, 0x370e, v45
	v_pack_b32_f16 v34, v49, v44
	v_add_f16_e32 v23, v43, v32
	v_sub_f16_sdwa v43, v25, v32 dst_sel:DWORD dst_unused:UNUSED_PAD src0_sel:DWORD src1_sel:WORD_1
	v_add_f16_sdwa v44, v35, v35 dst_sel:DWORD dst_unused:UNUSED_PAD src0_sel:WORD_1 src1_sel:DWORD
	v_sub_f16_e32 v25, v32, v25
	v_sub_f16_sdwa v45, v32, v32 dst_sel:DWORD dst_unused:UNUSED_PAD src0_sel:WORD_1 src1_sel:DWORD
	v_sub_f16_sdwa v32, v35, v20 dst_sel:DWORD dst_unused:UNUSED_PAD src0_sel:WORD_1 src1_sel:DWORD
	v_sub_f16_sdwa v46, v35, v35 dst_sel:DWORD dst_unused:UNUSED_PAD src0_sel:DWORD src1_sel:WORD_1
	v_pack_b32_f16 v39, v33, v39
	v_sub_f16_e32 v33, v53, v51
	v_add_f16_sdwa v14, v23, v14 dst_sel:DWORD dst_unused:UNUSED_PAD src0_sel:DWORD src1_sel:WORD_1
	v_add_f16_e32 v44, v20, v44
	v_sub_f16_e32 v20, v20, v35
	v_mul_f16_e32 v35, 0x3a52, v45
	v_mul_f16_e32 v49, 0x3b00, v32
	v_mul_f16_e32 v25, 0x2b26, v25
	v_mul_f16_e32 v46, 0xb846, v46
	v_pack_b32_f16 v33, v33, v37
	v_sub_f16_e32 v37, v36, v27
	v_fmamk_f16 v23, v23, 0xbcab, v14
	v_fma_f16 v35, v43, 0xb9e0, -v35
	v_fma_f16 v49, v20, 0xb574, -v49
	;; [unrolled: 1-line block ×4, first 2 shown]
	v_pack_b32_f16 v32, v22, v37
	v_add_f16_e32 v22, v35, v23
	v_fmac_f16_e32 v49, 0x370e, v44
	v_add_f16_e32 v35, v43, v23
	v_fmac_f16_e32 v50, 0x370e, v44
	v_add_f16_sdwa v18, v21, v18 dst_sel:DWORD dst_unused:UNUSED_PAD src0_sel:DWORD src1_sel:WORD_1
	v_pk_add_f16 v21, v26, v108
	v_fmamk_f16 v25, v45, 0x3a52, v25
	v_pk_add_f16 v24, v107, v24 neg_lo:[0,1] neg_hi:[0,1]
	ds_write_b96 v19, v[39:41] offset:686
	ds_write_b96 v19, v[32:34] offset:1372
	v_sub_f16_e32 v32, v22, v49
	v_add_f16_e32 v22, v49, v22
	v_sub_f16_e32 v33, v35, v50
	v_fmamk_f16 v34, v20, 0x3574, v46
	v_add_f16_sdwa v20, v21, v18 dst_sel:DWORD dst_unused:UNUSED_PAD src0_sel:WORD_1 src1_sel:DWORD
	v_add_f16_e32 v23, v25, v23
	v_sub_f16_e32 v12, v12, v15
	v_add_f16_sdwa v25, v24, v24 dst_sel:DWORD dst_unused:UNUSED_PAD src0_sel:WORD_1 src1_sel:DWORD
	v_pack_b32_f16 v22, v33, v22
	v_add_f16_e32 v15, v20, v21
	v_sub_f16_sdwa v20, v18, v21 dst_sel:DWORD dst_unused:UNUSED_PAD src0_sel:DWORD src1_sel:WORD_1
	v_sub_f16_e32 v18, v21, v18
	v_sub_f16_sdwa v33, v21, v21 dst_sel:DWORD dst_unused:UNUSED_PAD src0_sel:WORD_1 src1_sel:DWORD
	v_sub_f16_sdwa v21, v24, v12 dst_sel:DWORD dst_unused:UNUSED_PAD src0_sel:WORD_1 src1_sel:DWORD
	v_add_f16_e32 v25, v12, v25
	v_sub_f16_e32 v12, v12, v24
	v_sub_f16_sdwa v24, v24, v24 dst_sel:DWORD dst_unused:UNUSED_PAD src0_sel:DWORD src1_sel:WORD_1
	v_add_f16_e32 v26, v50, v35
	v_add_f16_sdwa v9, v15, v9 dst_sel:DWORD dst_unused:UNUSED_PAD src0_sel:DWORD src1_sel:WORD_1
	v_mul_f16_e32 v35, 0x3a52, v33
	v_mul_f16_e32 v37, 0x3b00, v21
	;; [unrolled: 1-line block ×4, first 2 shown]
	v_fmac_f16_e32 v34, 0x370e, v44
	v_fmamk_f16 v15, v15, 0xbcab, v9
	v_fma_f16 v35, v20, 0xb9e0, -v35
	v_fma_f16 v37, v12, 0xb574, -v37
	;; [unrolled: 1-line block ×4, first 2 shown]
	v_sub_f16_e32 v39, v23, v34
	v_add_f16_e32 v35, v35, v15
	v_fmac_f16_e32 v37, 0x370e, v25
	v_pack_b32_f16 v21, v32, v26
	v_add_f16_e32 v26, v20, v15
	v_fmac_f16_e32 v40, 0x370e, v25
	v_pack_b32_f16 v20, v14, v39
	v_sub_f16_e32 v14, v35, v37
	v_fmamk_f16 v24, v12, 0x3574, v24
	v_add_f16_sdwa v11, v13, v11 dst_sel:DWORD dst_unused:UNUSED_PAD src0_sel:DWORD src1_sel:WORD_1
	v_add_f16_e32 v12, v40, v26
	v_pk_add_f16 v17, v17, v110
	v_sub_f16_e32 v6, v6, v7
	ds_write_b96 v19, v[20:22] offset:2058
	v_pk_add_f16 v16, v109, v16 neg_lo:[0,1] neg_hi:[0,1]
	v_pack_b32_f16 v12, v14, v12
	v_sub_f16_e32 v14, v17, v11
	v_sub_f16_sdwa v7, v17, v17 dst_sel:DWORD dst_unused:UNUSED_PAD src0_sel:WORD_1 src1_sel:DWORD
	v_add_f16_sdwa v20, v17, v11 dst_sel:DWORD dst_unused:UNUSED_PAD src0_sel:WORD_1 src1_sel:DWORD
	v_sub_f16_sdwa v11, v11, v17 dst_sel:DWORD dst_unused:UNUSED_PAD src0_sel:DWORD src1_sel:WORD_1
	v_fmamk_f16 v18, v33, 0x3a52, v18
	v_mul_f16_e32 v14, 0x2b26, v14
	v_mul_f16_e32 v21, 0x3a52, v7
	v_add_f16_e32 v17, v20, v17
	v_sub_f16_sdwa v20, v16, v16 dst_sel:DWORD dst_unused:UNUSED_PAD src0_sel:DWORD src1_sel:WORD_1
	v_fmac_f16_e32 v24, 0x370e, v25
	v_fmamk_f16 v7, v7, 0x3a52, v14
	v_fma_f16 v14, v11, 0x39e0, -v14
	v_fma_f16 v11, v11, 0xb9e0, -v21
	v_sub_f16_sdwa v21, v16, v6 dst_sel:DWORD dst_unused:UNUSED_PAD src0_sel:WORD_1 src1_sel:DWORD
	v_add_f16_sdwa v4, v17, v4 dst_sel:DWORD dst_unused:UNUSED_PAD src0_sel:DWORD src1_sel:WORD_1
	v_add_f16_sdwa v22, v16, v16 dst_sel:DWORD dst_unused:UNUSED_PAD src0_sel:WORD_1 src1_sel:DWORD
	v_mul_f16_e32 v20, 0xb846, v20
	v_sub_f16_e32 v16, v6, v16
	v_mul_f16_e32 v25, 0x3b00, v21
	v_add_f16_e32 v15, v18, v15
	v_fmamk_f16 v17, v17, 0xbcab, v4
	v_add_f16_e32 v6, v6, v22
	v_fma_f16 v21, v21, 0x3b00, -v20
	v_fmamk_f16 v20, v16, 0x3574, v20
	v_fma_f16 v16, v16, 0xb574, -v25
	v_sub_f16_e32 v18, v15, v24
	v_add_f16_e32 v7, v7, v17
	v_add_f16_e32 v14, v14, v17
	v_fmac_f16_e32 v21, 0x370e, v6
	v_add_f16_e32 v17, v11, v17
	v_fmac_f16_e32 v16, 0x370e, v6
	v_fmac_f16_e32 v20, 0x370e, v6
	v_add_f16_e32 v32, v37, v35
	v_sub_f16_e32 v33, v26, v40
	v_pack_b32_f16 v11, v9, v18
	v_add_f16_e32 v6, v21, v14
	v_sub_f16_e32 v9, v14, v21
	v_add_f16_e32 v14, v16, v17
	v_add_f16_e32 v18, v20, v7
	v_sub_f16_e32 v7, v7, v20
	v_sub_f16_e32 v16, v17, v16
	v_add_f16_sdwa v1, v2, v1 dst_sel:DWORD dst_unused:UNUSED_PAD src0_sel:DWORD src1_sel:WORD_1
	v_pk_add_f16 v2, v10, v112
	v_pack_b32_f16 v13, v33, v32
	v_pack_b32_f16 v10, v6, v9
	;; [unrolled: 1-line block ×3, first 2 shown]
	v_sub_f16_e32 v0, v5, v0
	v_sub_f16_e32 v6, v2, v1
	v_add_f16_sdwa v5, v2, v1 dst_sel:DWORD dst_unused:UNUSED_PAD src0_sel:WORD_1 src1_sel:DWORD
	v_sub_f16_sdwa v7, v2, v2 dst_sel:DWORD dst_unused:UNUSED_PAD src0_sel:WORD_1 src1_sel:DWORD
	v_pk_add_f16 v8, v111, v8 neg_lo:[0,1] neg_hi:[0,1]
	ds_write_b96 v19, v[11:13] offset:2744
	v_mul_f16_e32 v6, 0x2b26, v6
	v_sub_f16_sdwa v1, v1, v2 dst_sel:DWORD dst_unused:UNUSED_PAD src0_sel:DWORD src1_sel:WORD_1
	v_add_f16_e32 v2, v5, v2
	v_mul_f16_e32 v5, 0x3a52, v7
	v_add_f16_sdwa v12, v8, v8 dst_sel:DWORD dst_unused:UNUSED_PAD src0_sel:WORD_1 src1_sel:DWORD
	v_sub_f16_sdwa v13, v8, v8 dst_sel:DWORD dst_unused:UNUSED_PAD src0_sel:DWORD src1_sel:WORD_1
	v_pack_b32_f16 v11, v14, v18
	v_fmamk_f16 v7, v7, 0x3a52, v6
	v_fma_f16 v6, v1, 0x39e0, -v6
	v_fma_f16 v1, v1, 0xb9e0, -v5
	v_add_f16_e32 v5, v0, v12
	v_sub_f16_sdwa v12, v8, v0 dst_sel:DWORD dst_unused:UNUSED_PAD src0_sel:WORD_1 src1_sel:DWORD
	v_add_f16_sdwa v3, v2, v3 dst_sel:DWORD dst_unused:UNUSED_PAD src0_sel:DWORD src1_sel:WORD_1
	v_mul_f16_e32 v13, 0xb846, v13
	v_and_b32_e32 v14, 0xff, v28
	v_sub_f16_e32 v0, v0, v8
	v_mul_f16_e32 v8, 0x3b00, v12
	v_fmamk_f16 v2, v2, 0xbcab, v3
	v_fma_f16 v12, v12, 0x3b00, -v13
	v_mul_lo_u16 v14, v14, 37
	v_fmamk_f16 v13, v0, 0x3574, v13
	v_fma_f16 v0, v0, 0xb574, -v8
	v_add_f16_e32 v6, v6, v2
	v_fmac_f16_e32 v12, 0x370e, v5
	v_lshrrev_b16 v8, 8, v14
	v_add_f16_e32 v7, v7, v2
	v_add_f16_e32 v1, v1, v2
	v_fmac_f16_e32 v0, 0x370e, v5
	v_fmac_f16_e32 v13, 0x370e, v5
	v_sub_nc_u16 v2, v28, v8
	v_add_f16_e32 v5, v12, v6
	v_sub_f16_e32 v6, v6, v12
	v_add_f16_e32 v12, v0, v1
	v_sub_f16_e32 v0, v1, v0
	v_lshrrev_b16 v16, 1, v2
	v_add_f16_e32 v14, v13, v7
	v_pack_b32_f16 v1, v5, v6
	v_add_nc_u16 v5, v28, 49
	v_sub_f16_e32 v7, v7, v13
	ds_write_b96 v19, v[9:11] offset:3432
	v_and_b32_e32 v9, 0x7f, v16
	v_add_f16_e32 v6, v47, v48
	v_and_b32_e32 v10, 0xff, v5
	v_pack_b32_f16 v0, v7, v0
	v_add_nc_u16 v49, v28, 0x62
	v_add_nc_u16 v7, v9, v8
	ds_write_b16 v19, v6 offset:12
	v_mul_lo_u16 v6, v10, 37
	v_add_f16_e32 v8, v38, v42
	v_add_f16_e32 v9, v27, v36
	v_lshrrev_b16 v103, 2, v7
	v_add_f16_e32 v7, v24, v15
	v_lshrrev_b16 v6, 8, v6
	v_add_f16_e32 v11, v34, v23
	v_pack_b32_f16 v2, v12, v14
	ds_write_b16 v19, v8 offset:698
	ds_write_b16 v19, v9 offset:1384
	;; [unrolled: 1-line block ×4, first 2 shown]
	v_sub_nc_u16 v7, v5, v6
	v_and_b32_e32 v51, 0xff, v49
	ds_write_b16 v19, v4 offset:3430
	ds_write_b96 v19, v[0:2] offset:4118
	v_add_nc_u32_e32 v46, 0xc4, v28
	v_lshrrev_b16 v4, 1, v7
	v_mul_lo_u16 v0, v51, 37
	v_add_nc_u16 v50, v28, 0x93
	v_mul_lo_u16 v8, v103, 7
	v_and_b32_e32 v53, 0xff, v46
	v_and_b32_e32 v4, 0x7f, v4
	v_lshrrev_b16 v7, 8, v0
	v_and_b32_e32 v52, 0xff, v50
	v_sub_nc_u16 v104, v28, v8
	v_mul_lo_u16 v11, v53, 37
	v_add_nc_u16 v4, v4, v6
	v_sub_nc_u16 v6, v49, v7
	v_mov_b32_e32 v20, 6
	v_mul_lo_u16 v8, v52, 37
	v_lshrrev_b16 v12, 8, v11
	v_lshrrev_b16 v105, 2, v4
	;; [unrolled: 1-line block ×3, first 2 shown]
	ds_write_b16 v19, v3 offset:4116
	v_mul_u32_u24_sdwa v3, v104, v20 dst_sel:DWORD dst_unused:UNUSED_PAD src0_sel:BYTE_0 src1_sel:DWORD
	v_lshrrev_b16 v8, 8, v8
	v_mul_lo_u16 v6, v105, 7
	v_and_b32_e32 v4, 0x7f, v4
	s_waitcnt lgkmcnt(0)
	v_lshlrev_b32_e32 v32, 2, v3
	s_barrier
	v_sub_nc_u16 v106, v5, v6
	v_add_nc_u16 v4, v4, v7
	v_sub_nc_u16 v6, v50, v8
	buffer_gl0_inv
	global_load_dwordx4 v[0:3], v32, s[8:9]
	v_add_nc_u32_e32 v47, 0xf5, v28
	v_lshrrev_b16 v108, 2, v4
	v_lshrrev_b16 v9, 1, v6
	v_mov_b32_e32 v16, 0x2493
	v_mul_u32_u24_sdwa v5, v106, v20 dst_sel:DWORD dst_unused:UNUSED_PAD src0_sel:BYTE_0 src1_sel:DWORD
	v_add_nc_u32_e32 v48, 0x126, v28
	v_mul_lo_u16 v10, v108, 7
	v_and_b32_e32 v9, 0x7f, v9
	v_lshlrev_b32_e32 v33, 2, v5
	v_sub_nc_u16 v110, v49, v10
	v_sub_nc_u16 v10, v46, v12
	v_add_nc_u16 v8, v9, v8
	global_load_dwordx4 v[4:7], v33, s[8:9]
	v_mul_u32_u24_sdwa v9, v110, v20 dst_sel:DWORD dst_unused:UNUSED_PAD src0_sel:BYTE_0 src1_sel:DWORD
	v_lshrrev_b16 v13, 1, v10
	v_lshrrev_b16 v107, 2, v8
	v_lshlrev_b32_e32 v34, 2, v9
	v_and_b32_e32 v13, 0x7f, v13
	v_mul_lo_u16 v14, v107, 7
	global_load_dwordx4 v[8:11], v34, s[8:9]
	v_add_nc_u16 v12, v13, v12
	v_sub_nc_u16 v109, v50, v14
	v_lshrrev_b16 v111, 2, v12
	v_mul_u32_u24_sdwa v12, v47, v16 dst_sel:DWORD dst_unused:UNUSED_PAD src0_sel:WORD_0 src1_sel:DWORD
	v_mul_u32_u24_sdwa v16, v48, v16 dst_sel:DWORD dst_unused:UNUSED_PAD src0_sel:WORD_0 src1_sel:DWORD
	v_mul_u32_u24_sdwa v13, v109, v20 dst_sel:DWORD dst_unused:UNUSED_PAD src0_sel:BYTE_0 src1_sel:DWORD
	v_mul_lo_u16 v17, v111, 7
	v_lshrrev_b32_e32 v18, 16, v12
	v_lshrrev_b32_e32 v16, 16, v16
	v_lshlrev_b32_e32 v35, 2, v13
	v_sub_nc_u16 v112, v46, v17
	v_sub_nc_u16 v17, v47, v18
	global_load_dwordx4 v[12:15], v35, s[8:9]
	v_mul_u32_u24_sdwa v19, v112, v20 dst_sel:DWORD dst_unused:UNUSED_PAD src0_sel:BYTE_0 src1_sel:DWORD
	v_lshrrev_b16 v17, 1, v17
	v_lshlrev_b32_e32 v36, 2, v19
	v_add_nc_u16 v17, v17, v18
	global_load_dwordx4 v[24:27], v36, s[8:9]
	v_lshrrev_b16 v115, 2, v17
	v_sub_nc_u16 v17, v48, v16
	v_mul_lo_u16 v18, v115, 7
	v_lshrrev_b16 v17, 1, v17
	v_sub_nc_u16 v116, v47, v18
	v_add_nc_u16 v16, v17, v16
	v_mul_u32_u24_sdwa v17, v116, v20 dst_sel:DWORD dst_unused:UNUSED_PAD src0_sel:WORD_0 src1_sel:DWORD
	v_lshrrev_b16 v113, 2, v16
	v_lshlrev_b32_e32 v117, 2, v17
	v_mul_lo_u16 v21, v113, 7
	global_load_dwordx4 v[16:19], v117, s[8:9]
	v_sub_nc_u16 v114, v48, v21
	v_mul_u32_u24_sdwa v20, v114, v20 dst_sel:DWORD dst_unused:UNUSED_PAD src0_sel:WORD_0 src1_sel:DWORD
	v_lshlrev_b32_e32 v118, 2, v20
	s_clause 0x7
	global_load_dwordx4 v[20:23], v118, s[8:9]
	global_load_dwordx2 v[44:45], v32, s[8:9] offset:16
	global_load_dwordx2 v[42:43], v33, s[8:9] offset:16
	;; [unrolled: 1-line block ×7, first 2 shown]
	ds_read_u16 v119, v29 offset:686
	ds_read_u16 v118, v29 offset:1372
	;; [unrolled: 1-line block ×5, first 2 shown]
	s_waitcnt vmcnt(13) lgkmcnt(4)
	v_mul_f16_sdwa v121, v119, v0 dst_sel:DWORD dst_unused:UNUSED_PAD src0_sel:DWORD src1_sel:WORD_1
	v_mul_f16_sdwa v142, v102, v0 dst_sel:DWORD dst_unused:UNUSED_PAD src0_sel:DWORD src1_sel:WORD_1
	;; [unrolled: 1-line block ×3, first 2 shown]
	s_waitcnt lgkmcnt(2)
	v_mul_f16_sdwa v125, v117, v2 dst_sel:DWORD dst_unused:UNUSED_PAD src0_sel:DWORD src1_sel:WORD_1
	v_mul_f16_sdwa v153, v101, v2 dst_sel:DWORD dst_unused:UNUSED_PAD src0_sel:DWORD src1_sel:WORD_1
	v_fma_f16 v151, v102, v0, -v121
	ds_read_u16 v102, v29 offset:1470
	ds_read_u16 v129, v29 offset:1274
	;; [unrolled: 1-line block ×6, first 2 shown]
	v_mul_f16_sdwa v121, v118, v1 dst_sel:DWORD dst_unused:UNUSED_PAD src0_sel:DWORD src1_sel:WORD_1
	v_fmac_f16_e32 v142, v119, v0
	v_fmac_f16_e32 v152, v118, v1
	;; [unrolled: 1-line block ×3, first 2 shown]
	v_mul_f16_sdwa v154, v99, v3 dst_sel:DWORD dst_unused:UNUSED_PAD src0_sel:DWORD src1_sel:WORD_1
	v_fma_f16 v0, v100, v1, -v121
	v_fma_f16 v1, v101, v2, -v125
	ds_read_u16 v2, v29 offset:2842
	ds_read_u16 v100, v29 offset:2940
	;; [unrolled: 1-line block ×4, first 2 shown]
	s_waitcnt lgkmcnt(10)
	v_mul_f16_sdwa v101, v122, v3 dst_sel:DWORD dst_unused:UNUSED_PAD src0_sel:DWORD src1_sel:WORD_1
	s_waitcnt vmcnt(12)
	v_mul_f16_sdwa v130, v95, v4 dst_sel:DWORD dst_unused:UNUSED_PAD src0_sel:DWORD src1_sel:WORD_1
	ds_read_u16 v117, v29 offset:882
	ds_read_u16 v118, v29 offset:980
	;; [unrolled: 1-line block ×4, first 2 shown]
	v_fmac_f16_e32 v154, v122, v3
	v_mul_f16_sdwa v135, v98, v5 dst_sel:DWORD dst_unused:UNUSED_PAD src0_sel:DWORD src1_sel:WORD_1
	v_fma_f16 v155, v99, v3, -v101
	v_mul_f16_sdwa v134, v97, v6 dst_sel:DWORD dst_unused:UNUSED_PAD src0_sel:DWORD src1_sel:WORD_1
	ds_read_u16 v144, v29 offset:1568
	s_waitcnt lgkmcnt(12)
	v_mul_f16_sdwa v119, v123, v4 dst_sel:DWORD dst_unused:UNUSED_PAD src0_sel:DWORD src1_sel:WORD_1
	v_mul_f16_sdwa v3, v102, v5 dst_sel:DWORD dst_unused:UNUSED_PAD src0_sel:DWORD src1_sel:WORD_1
	v_fmac_f16_e32 v130, v123, v4
	v_mul_f16_sdwa v136, v96, v7 dst_sel:DWORD dst_unused:UNUSED_PAD src0_sel:DWORD src1_sel:WORD_1
	v_fmac_f16_e32 v135, v102, v5
	v_fma_f16 v131, v95, v4, -v119
	s_waitcnt lgkmcnt(11)
	v_mul_f16_sdwa v4, v124, v6 dst_sel:DWORD dst_unused:UNUSED_PAD src0_sel:DWORD src1_sel:WORD_1
	v_fma_f16 v132, v98, v5, -v3
	v_fmac_f16_e32 v134, v124, v6
	s_waitcnt lgkmcnt(8)
	v_mul_f16_sdwa v3, v2, v7 dst_sel:DWORD dst_unused:UNUSED_PAD src0_sel:DWORD src1_sel:WORD_1
	v_fmac_f16_e32 v136, v2, v7
	v_fma_f16 v133, v97, v6, -v4
	ds_read_u16 v5, v29 offset:1666
	ds_read_u16 v6, v29 offset:1764
	;; [unrolled: 1-line block ×4, first 2 shown]
	v_fma_f16 v138, v96, v7, -v3
	ds_read_u16 v7, v29 offset:2450
	s_waitcnt vmcnt(11)
	v_mul_f16_sdwa v3, v127, v10 dst_sel:DWORD dst_unused:UNUSED_PAD src0_sel:DWORD src1_sel:WORD_1
	s_waitcnt lgkmcnt(9)
	v_mul_f16_sdwa v4, v117, v8 dst_sel:DWORD dst_unused:UNUSED_PAD src0_sel:DWORD src1_sel:WORD_1
	v_mul_f16_sdwa v128, v89, v11 dst_sel:DWORD dst_unused:UNUSED_PAD src0_sel:DWORD src1_sel:WORD_1
	;; [unrolled: 1-line block ×4, first 2 shown]
	v_fma_f16 v124, v88, v10, -v3
	s_waitcnt vmcnt(10) lgkmcnt(8)
	v_mul_f16_sdwa v3, v118, v12 dst_sel:DWORD dst_unused:UNUSED_PAD src0_sel:DWORD src1_sel:WORD_1
	v_fma_f16 v123, v93, v8, -v4
	v_mul_f16_sdwa v4, v100, v11 dst_sel:DWORD dst_unused:UNUSED_PAD src0_sel:DWORD src1_sel:WORD_1
	v_fmac_f16_e32 v128, v100, v11
	s_waitcnt lgkmcnt(5)
	v_mul_f16_sdwa v95, v144, v9 dst_sel:DWORD dst_unused:UNUSED_PAD src0_sel:DWORD src1_sel:WORD_1
	v_fma_f16 v100, v91, v12, -v3
	ds_read_u16 v3, v29 offset:2548
	v_mul_f16_sdwa v126, v94, v9 dst_sel:DWORD dst_unused:UNUSED_PAD src0_sel:DWORD src1_sel:WORD_1
	v_fmac_f16_e32 v125, v127, v10
	v_fma_f16 v127, v89, v11, -v4
	s_waitcnt lgkmcnt(5)
	v_mul_f16_sdwa v4, v5, v13 dst_sel:DWORD dst_unused:UNUSED_PAD src0_sel:DWORD src1_sel:WORD_1
	v_mul_f16_sdwa v101, v92, v13 dst_sel:DWORD dst_unused:UNUSED_PAD src0_sel:DWORD src1_sel:WORD_1
	v_fmac_f16_e32 v121, v117, v8
	ds_read_u16 v8, v29 offset:3136
	v_mul_f16_sdwa v102, v90, v14 dst_sel:DWORD dst_unused:UNUSED_PAD src0_sel:DWORD src1_sel:WORD_1
	v_fma_f16 v122, v94, v9, -v95
	v_fmac_f16_e32 v126, v144, v9
	v_mul_f16_sdwa v98, v91, v12 dst_sel:DWORD dst_unused:UNUSED_PAD src0_sel:DWORD src1_sel:WORD_1
	v_fma_f16 v99, v92, v13, -v4
	v_fmac_f16_e32 v101, v5, v13
	s_waitcnt lgkmcnt(3)
	v_mul_f16_sdwa v4, v2, v14 dst_sel:DWORD dst_unused:UNUSED_PAD src0_sel:DWORD src1_sel:WORD_1
	v_mul_f16_sdwa v5, v139, v15 dst_sel:DWORD dst_unused:UNUSED_PAD src0_sel:DWORD src1_sel:WORD_1
	;; [unrolled: 1-line block ×3, first 2 shown]
	s_waitcnt vmcnt(9)
	v_mul_f16_sdwa v9, v141, v24 dst_sel:DWORD dst_unused:UNUSED_PAD src0_sel:DWORD src1_sel:WORD_1
	v_mul_f16_sdwa v92, v87, v24 dst_sel:DWORD dst_unused:UNUSED_PAD src0_sel:DWORD src1_sel:WORD_1
	v_fmac_f16_e32 v102, v2, v14
	v_mul_f16_sdwa v2, v6, v25 dst_sel:DWORD dst_unused:UNUSED_PAD src0_sel:DWORD src1_sel:WORD_1
	v_mul_f16_sdwa v93, v84, v25 dst_sel:DWORD dst_unused:UNUSED_PAD src0_sel:DWORD src1_sel:WORD_1
	v_fmac_f16_e32 v98, v118, v12
	v_fma_f16 v117, v90, v14, -v4
	v_fma_f16 v118, v83, v15, -v5
	v_fmac_f16_e32 v119, v139, v15
	v_fma_f16 v90, v87, v24, -v9
	v_fmac_f16_e32 v92, v141, v24
	ds_read_u16 v9, v29 offset:3626
	ds_read_u16 v15, v29 offset:3724
	;; [unrolled: 1-line block ×7, first 2 shown]
	v_fma_f16 v95, v84, v25, -v2
	v_fmac_f16_e32 v93, v6, v25
	ds_read_u16 v6, v29 offset:4116
	s_waitcnt vmcnt(8)
	v_mul_f16_sdwa v2, v143, v16 dst_sel:DWORD dst_unused:UNUSED_PAD src0_sel:DWORD src1_sel:WORD_1
	s_waitcnt lgkmcnt(10)
	v_mul_f16_sdwa v4, v7, v26 dst_sel:DWORD dst_unused:UNUSED_PAD src0_sel:DWORD src1_sel:WORD_1
	s_waitcnt lgkmcnt(8)
	v_mul_f16_sdwa v10, v8, v27 dst_sel:DWORD dst_unused:UNUSED_PAD src0_sel:DWORD src1_sel:WORD_1
	v_mul_f16_sdwa v91, v86, v26 dst_sel:DWORD dst_unused:UNUSED_PAD src0_sel:DWORD src1_sel:WORD_1
	;; [unrolled: 1-line block ×3, first 2 shown]
	v_fma_f16 v84, v75, v16, -v2
	v_mul_f16_sdwa v2, v3, v18 dst_sel:DWORD dst_unused:UNUSED_PAD src0_sel:DWORD src1_sel:WORD_1
	v_fma_f16 v94, v86, v26, -v4
	v_mul_f16_sdwa v4, v145, v17 dst_sel:DWORD dst_unused:UNUSED_PAD src0_sel:DWORD src1_sel:WORD_1
	;; [unrolled: 2-line block ×3, first 2 shown]
	v_fma_f16 v86, v73, v18, -v2
	s_waitcnt vmcnt(7)
	v_mul_f16_sdwa v2, v129, v20 dst_sel:DWORD dst_unused:UNUSED_PAD src0_sel:DWORD src1_sel:WORD_1
	v_mul_f16_sdwa v85, v76, v17 dst_sel:DWORD dst_unused:UNUSED_PAD src0_sel:DWORD src1_sel:WORD_1
	v_fma_f16 v76, v76, v17, -v4
	s_waitcnt lgkmcnt(4)
	v_mul_f16_sdwa v4, v5, v19 dst_sel:DWORD dst_unused:UNUSED_PAD src0_sel:DWORD src1_sel:WORD_1
	v_mul_f16_sdwa v89, v74, v19 dst_sel:DWORD dst_unused:UNUSED_PAD src0_sel:DWORD src1_sel:WORD_1
	v_fmac_f16_e32 v87, v3, v18
	v_mul_f16_sdwa v3, v137, v21 dst_sel:DWORD dst_unused:UNUSED_PAD src0_sel:DWORD src1_sel:WORD_1
	v_mul_f16_sdwa v12, v78, v21 dst_sel:DWORD dst_unused:UNUSED_PAD src0_sel:DWORD src1_sel:WORD_1
	v_fma_f16 v11, v77, v20, -v2
	ds_read_u16 v2, v29 offset:4214
	v_fma_f16 v88, v74, v19, -v4
	v_fmac_f16_e32 v89, v5, v19
	v_mul_f16_sdwa v4, v77, v20 dst_sel:DWORD dst_unused:UNUSED_PAD src0_sel:DWORD src1_sel:WORD_1
	v_mul_f16_sdwa v5, v140, v22 dst_sel:DWORD dst_unused:UNUSED_PAD src0_sel:DWORD src1_sel:WORD_1
	;; [unrolled: 1-line block ×3, first 2 shown]
	v_fmac_f16_e32 v91, v7, v26
	v_mul_f16_sdwa v83, v75, v16 dst_sel:DWORD dst_unused:UNUSED_PAD src0_sel:DWORD src1_sel:WORD_1
	v_fma_f16 v10, v78, v21, -v3
	v_fmac_f16_e32 v12, v137, v21
	s_waitcnt lgkmcnt(4)
	v_mul_f16_sdwa v3, v139, v23 dst_sel:DWORD dst_unused:UNUSED_PAD src0_sel:DWORD src1_sel:WORD_1
	s_waitcnt vmcnt(6) lgkmcnt(2)
	v_mul_f16_sdwa v7, v144, v44 dst_sel:DWORD dst_unused:UNUSED_PAD src0_sel:DWORD src1_sel:WORD_1
	s_waitcnt lgkmcnt(1)
	v_mul_f16_sdwa v21, v6, v45 dst_sel:DWORD dst_unused:UNUSED_PAD src0_sel:DWORD src1_sel:WORD_1
	v_fmac_f16_e32 v85, v145, v17
	v_fmac_f16_e32 v4, v129, v20
	v_fma_f16 v5, v79, v22, -v5
	v_fmac_f16_e32 v13, v140, v22
	ds_read_u16 v17, v29 offset:4312
	ds_read_u16 v18, v29 offset:4410
	;; [unrolled: 1-line block ×5, first 2 shown]
	v_fmac_f16_e32 v97, v8, v27
	v_fmac_f16_e32 v83, v143, v16
	v_mul_f16_sdwa v8, v80, v44 dst_sel:DWORD dst_unused:UNUSED_PAD src0_sel:DWORD src1_sel:WORD_1
	v_fma_f16 v16, v82, v23, -v3
	v_fma_f16 v3, v80, v44, -v7
	;; [unrolled: 1-line block ×3, first 2 shown]
	s_waitcnt vmcnt(5)
	v_mul_f16_sdwa v21, v141, v42 dst_sel:DWORD dst_unused:UNUSED_PAD src0_sel:DWORD src1_sel:WORD_1
	v_mul_f16_sdwa v14, v82, v23 dst_sel:DWORD dst_unused:UNUSED_PAD src0_sel:DWORD src1_sel:WORD_1
	v_fmac_f16_e32 v8, v144, v44
	v_mul_f16_sdwa v149, v72, v43 dst_sel:DWORD dst_unused:UNUSED_PAD src0_sel:DWORD src1_sel:WORD_1
	s_waitcnt vmcnt(4)
	v_mul_f16_sdwa v144, v63, v40 dst_sel:DWORD dst_unused:UNUSED_PAD src0_sel:DWORD src1_sel:WORD_1
	v_fma_f16 v147, v71, v42, -v21
	ds_read_u16 v21, v29 offset:3920
	v_fmac_f16_e32 v14, v139, v23
	v_mul_f16_sdwa v23, v81, v45 dst_sel:DWORD dst_unused:UNUSED_PAD src0_sel:DWORD src1_sel:WORD_1
	s_waitcnt lgkmcnt(6)
	v_mul_f16_sdwa v25, v2, v43 dst_sel:DWORD dst_unused:UNUSED_PAD src0_sel:DWORD src1_sel:WORD_1
	v_fmac_f16_e32 v149, v2, v43
	v_mul_f16_sdwa v2, v9, v40 dst_sel:DWORD dst_unused:UNUSED_PAD src0_sel:DWORD src1_sel:WORD_1
	v_fmac_f16_e32 v144, v9, v40
	ds_read_u16 v9, v29 offset:4704
	v_mul_f16_sdwa v148, v71, v42 dst_sel:DWORD dst_unused:UNUSED_PAD src0_sel:DWORD src1_sel:WORD_1
	v_fmac_f16_e32 v23, v6, v45
	s_waitcnt lgkmcnt(6)
	v_mul_f16_sdwa v6, v17, v41 dst_sel:DWORD dst_unused:UNUSED_PAD src0_sel:DWORD src1_sel:WORD_1
	v_fma_f16 v143, v63, v40, -v2
	s_waitcnt vmcnt(3) lgkmcnt(5)
	v_mul_f16_sdwa v2, v18, v39 dst_sel:DWORD dst_unused:UNUSED_PAD src0_sel:DWORD src1_sel:WORD_1
	v_fmac_f16_e32 v148, v141, v42
	v_mul_f16_sdwa v139, v62, v38 dst_sel:DWORD dst_unused:UNUSED_PAD src0_sel:DWORD src1_sel:WORD_1
	v_fma_f16 v146, v68, v41, -v6
	s_waitcnt vmcnt(2)
	v_mul_f16_sdwa v6, v24, v36 dst_sel:DWORD dst_unused:UNUSED_PAD src0_sel:DWORD src1_sel:WORD_1
	v_fma_f16 v141, v67, v39, -v2
	s_waitcnt lgkmcnt(4)
	v_mul_f16_sdwa v2, v19, v37 dst_sel:DWORD dst_unused:UNUSED_PAD src0_sel:DWORD src1_sel:WORD_1
	v_fma_f16 v150, v72, v43, -v25
	v_mul_f16_sdwa v25, v15, v38 dst_sel:DWORD dst_unused:UNUSED_PAD src0_sel:DWORD src1_sel:WORD_1
	v_mul_f16_sdwa v81, v61, v36 dst_sel:DWORD dst_unused:UNUSED_PAD src0_sel:DWORD src1_sel:WORD_1
	v_fmac_f16_e32 v139, v15, v38
	v_fma_f16 v80, v61, v36, -v6
	v_mul_f16_sdwa v82, v66, v37 dst_sel:DWORD dst_unused:UNUSED_PAD src0_sel:DWORD src1_sel:WORD_1
	s_waitcnt vmcnt(1) lgkmcnt(1)
	v_mul_f16_sdwa v6, v21, v34 dst_sel:DWORD dst_unused:UNUSED_PAD src0_sel:DWORD src1_sel:WORD_1
	v_mul_f16_sdwa v77, v64, v34 dst_sel:DWORD dst_unused:UNUSED_PAD src0_sel:DWORD src1_sel:WORD_1
	;; [unrolled: 1-line block ×3, first 2 shown]
	v_fma_f16 v129, v66, v37, -v2
	s_waitcnt vmcnt(0)
	v_mul_f16_sdwa v2, v22, v32 dst_sel:DWORD dst_unused:UNUSED_PAD src0_sel:DWORD src1_sel:WORD_1
	v_mul_f16_sdwa v145, v68, v41 dst_sel:DWORD dst_unused:UNUSED_PAD src0_sel:DWORD src1_sel:WORD_1
	v_fmac_f16_e32 v81, v24, v36
	v_fmac_f16_e32 v82, v19, v37
	v_fma_f16 v36, v64, v34, -v6
	v_fmac_f16_e32 v77, v21, v34
	v_fma_f16 v78, v65, v35, -v15
	v_mul_f16_sdwa v79, v65, v35 dst_sel:DWORD dst_unused:UNUSED_PAD src0_sel:DWORD src1_sel:WORD_1
	v_mul_f16_sdwa v21, v69, v32 dst_sel:DWORD dst_unused:UNUSED_PAD src0_sel:DWORD src1_sel:WORD_1
	s_waitcnt lgkmcnt(0)
	v_mul_f16_sdwa v6, v9, v33 dst_sel:DWORD dst_unused:UNUSED_PAD src0_sel:DWORD src1_sel:WORD_1
	v_fma_f16 v19, v69, v32, -v2
	v_add_f16_e32 v2, v151, v7
	v_add_f16_e32 v15, v0, v3
	v_fmac_f16_e32 v145, v17, v41
	v_mul_f16_sdwa v140, v67, v39 dst_sel:DWORD dst_unused:UNUSED_PAD src0_sel:DWORD src1_sel:WORD_1
	v_mul_f16_sdwa v34, v70, v33 dst_sel:DWORD dst_unused:UNUSED_PAD src0_sel:DWORD src1_sel:WORD_1
	v_fmac_f16_e32 v79, v20, v35
	v_fmac_f16_e32 v21, v22, v32
	v_fma_f16 v32, v70, v33, -v6
	v_sub_f16_e32 v6, v151, v7
	v_add_f16_e32 v7, v142, v23
	v_sub_f16_e32 v0, v0, v3
	v_add_f16_e32 v3, v152, v8
	v_add_f16_e32 v17, v1, v155
	v_sub_f16_e32 v1, v155, v1
	v_add_f16_e32 v20, v15, v2
	v_fma_f16 v137, v62, v38, -v25
	v_fmac_f16_e32 v140, v18, v39
	v_fmac_f16_e32 v34, v9, v33
	v_sub_f16_e32 v9, v142, v23
	v_sub_f16_e32 v8, v152, v8
	v_add_f16_e32 v18, v153, v154
	v_sub_f16_e32 v22, v154, v153
	v_sub_f16_e32 v23, v15, v2
	;; [unrolled: 1-line block ×4, first 2 shown]
	v_add_f16_e32 v17, v17, v20
	v_add_f16_e32 v20, v3, v7
	;; [unrolled: 1-line block ×3, first 2 shown]
	v_sub_f16_e32 v24, v3, v7
	v_sub_f16_e32 v7, v7, v18
	;; [unrolled: 1-line block ×3, first 2 shown]
	v_add_f16_e32 v18, v18, v20
	v_sub_f16_e32 v20, v1, v0
	v_sub_f16_e32 v1, v6, v1
	;; [unrolled: 1-line block ×3, first 2 shown]
	v_add_f16_e32 v6, v25, v6
	v_add_f16_e32 v25, v22, v8
	v_sub_f16_e32 v26, v22, v8
	v_sub_f16_e32 v22, v9, v22
	v_sub_f16_e32 v8, v8, v9
	v_mul_f16_e32 v2, 0x3a52, v2
	v_add_f16_e32 v9, v25, v9
	ds_read_u16 v25, v29
	v_mul_f16_e32 v27, 0x2b26, v15
	v_mul_f16_e32 v7, 0x3a52, v7
	;; [unrolled: 1-line block ×3, first 2 shown]
	v_fmamk_f16 v15, v15, 0x2b26, v2
	v_fma_f16 v2, v23, 0xb9e0, -v2
	v_fma_f16 v27, v23, 0x39e0, -v27
	v_mul_f16_e32 v20, 0xb846, v20
	v_fmamk_f16 v3, v3, 0x2b26, v7
	v_fma_f16 v23, v24, 0x39e0, -v33
	v_fma_f16 v7, v24, 0xb9e0, -v7
	v_mul_f16_e32 v24, 0x3b00, v0
	v_fma_f16 v0, v0, 0x3b00, -v20
	v_fmamk_f16 v20, v1, 0x3574, v20
	v_add_f16_e32 v37, v60, v17
	v_mul_f16_e32 v26, 0xb846, v26
	v_fma_f16 v1, v1, 0xb574, -v24
	v_mul_f16_e32 v24, 0x3b00, v8
	v_fmac_f16_e32 v20, 0x370e, v6
	v_fmamk_f16 v17, v17, 0xbcab, v37
	s_waitcnt lgkmcnt(0)
	v_add_f16_e32 v153, v25, v18
	v_fma_f16 v8, v8, 0x3b00, -v26
	v_fmamk_f16 v25, v22, 0x3574, v26
	v_fma_f16 v22, v22, 0xb574, -v24
	v_fmac_f16_e32 v1, 0x370e, v6
	v_fmamk_f16 v18, v18, 0xbcab, v153
	v_add_f16_e32 v15, v15, v17
	v_add_f16_e32 v24, v27, v17
	v_add_f16_e32 v2, v2, v17
	v_fmac_f16_e32 v8, 0x370e, v9
	v_add_f16_e32 v7, v7, v18
	v_add_f16_e32 v3, v3, v18
	;; [unrolled: 1-line block ×3, first 2 shown]
	v_fmac_f16_e32 v0, 0x370e, v6
	v_fmac_f16_e32 v25, 0x370e, v9
	;; [unrolled: 1-line block ×3, first 2 shown]
	v_sub_f16_e32 v156, v7, v1
	v_add_f16_e32 v157, v1, v7
	v_add_f16_e32 v7, v131, v150
	;; [unrolled: 1-line block ×4, first 2 shown]
	v_sub_f16_e32 v155, v17, v0
	v_add_f16_e32 v0, v22, v2
	v_sub_f16_e32 v2, v2, v22
	v_sub_f16_e32 v158, v3, v20
	v_add_f16_e32 v159, v20, v3
	v_add_f16_e32 v3, v133, v138
	;; [unrolled: 1-line block ×3, first 2 shown]
	v_sub_f16_e32 v20, v135, v148
	v_sub_f16_e32 v22, v136, v134
	;; [unrolled: 1-line block ×3, first 2 shown]
	v_add_f16_e32 v8, v8, v24
	v_sub_f16_e32 v18, v9, v7
	v_sub_f16_e32 v7, v7, v3
	;; [unrolled: 1-line block ×4, first 2 shown]
	v_add_f16_e32 v3, v3, v17
	v_add_f16_e32 v17, v22, v20
	v_sub_f16_e32 v24, v22, v20
	v_add_f16_e32 v1, v25, v15
	v_sub_f16_e32 v15, v15, v25
	v_sub_f16_e32 v22, v23, v22
	;; [unrolled: 1-line block ×3, first 2 shown]
	v_add_f16_e32 v17, v17, v23
	v_mul_f16_e32 v23, 0x2b26, v9
	v_add_f16_e32 v25, v59, v3
	v_mul_f16_e32 v24, 0xb846, v24
	v_mul_f16_e32 v7, 0x3a52, v7
	;; [unrolled: 1-line block ×3, first 2 shown]
	v_fma_f16 v23, v18, 0x39e0, -v23
	v_fmamk_f16 v3, v3, 0xbcab, v25
	v_fma_f16 v20, v20, 0x3b00, -v24
	v_fmamk_f16 v9, v9, 0x2b26, v7
	v_fma_f16 v7, v18, 0xb9e0, -v7
	v_fma_f16 v18, v22, 0xb574, -v26
	v_fmamk_f16 v22, v22, 0x3574, v24
	v_add_f16_e32 v23, v23, v3
	v_fmac_f16_e32 v20, 0x370e, v17
	v_add_f16_e32 v7, v7, v3
	v_fmac_f16_e32 v18, 0x370e, v17
	v_add_f16_e32 v3, v9, v3
	v_fmac_f16_e32 v22, 0x370e, v17
	v_sub_f16_e32 v9, v23, v20
	v_add_f16_e32 v17, v20, v23
	v_add_f16_e32 v23, v123, v146
	v_add_f16_e32 v24, v122, v143
	v_add_f16_e32 v20, v18, v7
	v_sub_f16_e32 v7, v7, v18
	v_add_f16_e32 v18, v22, v3
	v_sub_f16_e32 v3, v3, v22
	v_add_f16_e32 v22, v124, v127
	v_add_f16_e32 v26, v24, v23
	v_sub_f16_e32 v38, v126, v144
	v_sub_f16_e32 v39, v128, v125
	v_sub_f16_e32 v27, v24, v23
	v_sub_f16_e32 v23, v23, v22
	v_sub_f16_e32 v40, v121, v145
	v_sub_f16_e32 v24, v22, v24
	v_add_f16_e32 v22, v22, v26
	v_add_f16_e32 v26, v39, v38
	v_sub_f16_e32 v41, v39, v38
	v_sub_f16_e32 v39, v40, v39
	v_sub_f16_e32 v38, v38, v40
	v_add_f16_e32 v42, v58, v22
	v_add_f16_e32 v26, v26, v40
	v_mul_f16_e32 v40, 0x2b26, v24
	v_mul_f16_e32 v41, 0xb846, v41
	v_mul_f16_e32 v23, 0x3a52, v23
	v_mul_f16_e32 v43, 0x3b00, v38
	v_fmamk_f16 v22, v22, 0xbcab, v42
	v_fma_f16 v40, v27, 0x39e0, -v40
	v_fma_f16 v38, v38, 0x3b00, -v41
	v_fmamk_f16 v24, v24, 0x2b26, v23
	v_fma_f16 v23, v27, 0xb9e0, -v23
	v_fma_f16 v27, v39, 0xb574, -v43
	v_fmamk_f16 v39, v39, 0x3574, v41
	v_add_f16_e32 v40, v40, v22
	v_fmac_f16_e32 v38, 0x370e, v26
	v_add_f16_e32 v23, v23, v22
	v_fmac_f16_e32 v27, 0x370e, v26
	v_add_f16_e32 v22, v24, v22
	v_fmac_f16_e32 v39, 0x370e, v26
	v_sub_f16_e32 v24, v40, v38
	v_add_f16_e32 v26, v38, v40
	v_add_f16_e32 v40, v100, v141
	v_add_f16_e32 v41, v99, v137
	v_add_f16_e32 v38, v27, v23
	v_sub_f16_e32 v23, v23, v27
	v_add_f16_e32 v27, v39, v22
	v_sub_f16_e32 v22, v22, v39
	v_add_f16_e32 v39, v117, v118
	v_add_f16_e32 v43, v41, v40
	v_sub_f16_e32 v45, v101, v139
	v_sub_f16_e32 v58, v119, v102
	v_sub_f16_e32 v44, v41, v40
	v_sub_f16_e32 v40, v40, v39
	v_sub_f16_e32 v59, v98, v140
	v_sub_f16_e32 v41, v39, v41
	v_add_f16_e32 v39, v39, v43
	v_add_f16_e32 v43, v58, v45
	v_sub_f16_e32 v60, v58, v45
	v_sub_f16_e32 v58, v59, v58
	v_sub_f16_e32 v45, v45, v59
	v_add_f16_e32 v57, v57, v39
	v_add_f16_e32 v43, v43, v59
	v_mul_f16_e32 v59, 0x2b26, v41
	v_mul_f16_e32 v60, 0xb846, v60
	v_mul_f16_e32 v40, 0x3a52, v40
	v_mul_f16_e32 v61, 0x3b00, v45
	v_fmamk_f16 v39, v39, 0xbcab, v57
	v_fma_f16 v59, v44, 0x39e0, -v59
	;; [unrolled: 40-line block ×4, first 2 shown]
	v_fma_f16 v69, v69, 0x3b00, -v72
	v_fmamk_f16 v66, v66, 0x2b26, v65
	v_fma_f16 v65, v68, 0xb9e0, -v65
	v_fma_f16 v68, v70, 0xb574, -v73
	v_fmamk_f16 v70, v70, 0x3574, v72
	v_add_f16_e32 v71, v71, v64
	v_fmac_f16_e32 v69, 0x370e, v67
	v_add_f16_e32 v65, v65, v64
	v_fmac_f16_e32 v68, 0x370e, v67
	;; [unrolled: 2-line block ×3, first 2 shown]
	v_sub_f16_e32 v66, v71, v69
	v_add_f16_e32 v67, v69, v71
	v_add_f16_e32 v71, v11, v32
	;; [unrolled: 1-line block ×4, first 2 shown]
	v_sub_f16_e32 v65, v65, v68
	v_add_f16_e32 v68, v70, v64
	v_sub_f16_e32 v64, v64, v70
	v_add_f16_e32 v70, v5, v16
	v_add_f16_e32 v73, v72, v71
	v_sub_f16_e32 v74, v72, v71
	v_sub_f16_e32 v75, v12, v21
	;; [unrolled: 1-line block ×6, first 2 shown]
	v_add_f16_e32 v70, v70, v73
	v_add_f16_e32 v73, v160, v75
	v_sub_f16_e32 v162, v160, v75
	v_mul_f16_e32 v71, 0x3a52, v71
	v_sub_f16_e32 v75, v75, v161
	v_mul_f16_e32 v163, 0x2b26, v72
	v_add_f16_e32 v54, v54, v70
	v_sub_f16_e32 v160, v161, v160
	v_add_f16_e32 v73, v73, v161
	v_fmamk_f16 v72, v72, 0x2b26, v71
	v_mul_f16_e32 v161, 0xb846, v162
	v_fma_f16 v162, v74, 0x39e0, -v163
	v_mul_f16_e32 v163, 0x3b00, v75
	v_fmamk_f16 v70, v70, 0xbcab, v54
	v_fma_f16 v71, v74, 0xb9e0, -v71
	v_fma_f16 v74, v75, 0x3b00, -v161
	v_fmamk_f16 v75, v160, 0x3574, v161
	v_fma_f16 v160, v160, 0xb574, -v163
	v_add_f16_e32 v72, v72, v70
	v_add_f16_e32 v161, v162, v70
	;; [unrolled: 1-line block ×3, first 2 shown]
	v_mov_b32_e32 v71, 0x62
	v_mov_b32_e32 v162, 1
	v_fmac_f16_e32 v74, 0x370e, v73
	v_fmac_f16_e32 v160, 0x370e, v73
	;; [unrolled: 1-line block ×3, first 2 shown]
	v_mul_u32_u24_sdwa v73, v103, v71 dst_sel:DWORD dst_unused:UNUSED_PAD src0_sel:WORD_0 src1_sel:DWORD
	v_lshlrev_b32_sdwa v103, v162, v104 dst_sel:DWORD dst_unused:UNUSED_PAD src0_sel:DWORD src1_sel:BYTE_0
	v_sub_f16_e32 v104, v161, v74
	v_add_f16_e32 v74, v74, v161
	v_add_f16_e32 v161, v160, v70
	v_sub_f16_e32 v70, v70, v160
	v_add3_u32 v160, 0, v73, v103
	ds_read_u16 v152, v29 offset:98
	ds_read_u16 v151, v29 offset:196
	;; [unrolled: 1-line block ×5, first 2 shown]
	s_waitcnt lgkmcnt(0)
	s_barrier
	buffer_gl0_inv
	ds_write_b16 v160, v37
	ds_write_b16 v160, v1 offset:14
	ds_write_b16 v160, v0 offset:28
	v_mul_u32_u24_sdwa v0, v108, v71 dst_sel:DWORD dst_unused:UNUSED_PAD src0_sel:WORD_0 src1_sel:DWORD
	v_lshlrev_b32_sdwa v1, v162, v110 dst_sel:DWORD dst_unused:UNUSED_PAD src0_sel:DWORD src1_sel:BYTE_0
	v_lshlrev_b32_sdwa v103, v162, v106 dst_sel:DWORD dst_unused:UNUSED_PAD src0_sel:DWORD src1_sel:BYTE_0
	v_add_f16_e32 v73, v75, v72
	v_sub_f16_e32 v72, v72, v75
	v_mul_u32_u24_sdwa v75, v105, v71 dst_sel:DWORD dst_unused:UNUSED_PAD src0_sel:WORD_0 src1_sel:DWORD
	v_add3_u32 v106, 0, v0, v1
	v_mul_u32_u24_sdwa v0, v107, v71 dst_sel:DWORD dst_unused:UNUSED_PAD src0_sel:WORD_0 src1_sel:DWORD
	v_lshlrev_b32_sdwa v1, v162, v109 dst_sel:DWORD dst_unused:UNUSED_PAD src0_sel:DWORD src1_sel:BYTE_0
	ds_write_b16 v160, v6 offset:42
	ds_write_b16 v160, v8 offset:56
	;; [unrolled: 1-line block ×3, first 2 shown]
	v_add3_u32 v105, 0, v75, v103
	ds_write_b16 v160, v15 offset:84
	ds_write_b16 v105, v25
	ds_write_b16 v105, v18 offset:14
	ds_write_b16 v105, v20 offset:28
	v_add3_u32 v107, 0, v0, v1
	v_mul_u32_u24_sdwa v0, v111, v71 dst_sel:DWORD dst_unused:UNUSED_PAD src0_sel:WORD_0 src1_sel:DWORD
	v_lshlrev_b32_sdwa v1, v162, v112 dst_sel:DWORD dst_unused:UNUSED_PAD src0_sel:DWORD src1_sel:BYTE_0
	ds_write_b16 v105, v9 offset:42
	ds_write_b16 v105, v17 offset:56
	;; [unrolled: 1-line block ×4, first 2 shown]
	ds_write_b16 v106, v42
	ds_write_b16 v106, v27 offset:14
	ds_write_b16 v106, v38 offset:28
	;; [unrolled: 1-line block ×6, first 2 shown]
	ds_write_b16 v107, v57
	ds_write_b16 v107, v44 offset:14
	ds_write_b16 v107, v45 offset:28
	v_add3_u32 v108, 0, v0, v1
	v_mul_u32_u24_sdwa v0, v115, v71 dst_sel:DWORD dst_unused:UNUSED_PAD src0_sel:WORD_0 src1_sel:DWORD
	v_lshlrev_b32_sdwa v1, v162, v116 dst_sel:DWORD dst_unused:UNUSED_PAD src0_sel:DWORD src1_sel:WORD_0
	ds_write_b16 v107, v41 offset:42
	ds_write_b16 v107, v43 offset:56
	;; [unrolled: 1-line block ×4, first 2 shown]
	ds_write_b16 v108, v56
	ds_write_b16 v108, v62 offset:14
	ds_write_b16 v108, v63 offset:28
	;; [unrolled: 1-line block ×5, first 2 shown]
	v_add3_u32 v109, 0, v0, v1
	v_mul_u32_u24_sdwa v0, v113, v71 dst_sel:DWORD dst_unused:UNUSED_PAD src0_sel:WORD_0 src1_sel:DWORD
	v_lshlrev_b32_sdwa v1, v162, v114 dst_sel:DWORD dst_unused:UNUSED_PAD src0_sel:DWORD src1_sel:WORD_0
	ds_write_b16 v108, v58 offset:84
	ds_write_b16 v109, v55
	ds_write_b16 v109, v68 offset:14
	ds_write_b16 v109, v69 offset:28
	v_add_f16_e32 v110, v135, v148
	v_add_f16_e32 v112, v134, v136
	v_add3_u32 v103, 0, v0, v1
	ds_write_b16 v109, v66 offset:42
	ds_write_b16 v109, v67 offset:56
	;; [unrolled: 1-line block ×4, first 2 shown]
	ds_write_b16 v103, v54
	ds_write_b16 v103, v73 offset:14
	ds_write_b16 v103, v161 offset:28
	;; [unrolled: 1-line block ×6, first 2 shown]
	v_add_f16_e32 v104, v130, v149
	v_sub_f16_e32 v113, v132, v147
	v_sub_f16_e32 v115, v138, v133
	;; [unrolled: 1-line block ×3, first 2 shown]
	s_waitcnt lgkmcnt(0)
	v_add_f16_e32 v114, v110, v104
	v_sub_f16_e32 v116, v110, v104
	v_sub_f16_e32 v104, v104, v112
	;; [unrolled: 1-line block ×4, first 2 shown]
	v_add_f16_e32 v112, v112, v114
	v_add_f16_e32 v114, v115, v113
	v_sub_f16_e32 v113, v113, v111
	v_sub_f16_e32 v115, v111, v115
	v_mul_f16_e32 v104, 0x3a52, v104
	v_mul_f16_e32 v131, 0x2b26, v110
	v_add_f16_e32 v111, v114, v111
	v_add_f16_e32 v114, v152, v112
	v_mul_f16_e32 v130, 0xb846, v130
	v_mul_f16_e32 v132, 0x3b00, v113
	v_fmamk_f16 v110, v110, 0x2b26, v104
	v_fma_f16 v131, v116, 0x39e0, -v131
	v_fmamk_f16 v112, v112, 0xbcab, v114
	v_fma_f16 v104, v116, 0xb9e0, -v104
	v_fma_f16 v113, v113, 0x3b00, -v130
	v_fmamk_f16 v116, v115, 0x3574, v130
	v_fma_f16 v115, v115, 0xb574, -v132
	v_add_f16_e32 v110, v110, v112
	v_add_f16_e32 v130, v131, v112
	v_fmac_f16_e32 v113, 0x370e, v111
	v_fmac_f16_e32 v116, 0x370e, v111
	v_add_f16_e32 v104, v104, v112
	v_fmac_f16_e32 v115, 0x370e, v111
	s_barrier
	v_add_f16_e32 v111, v113, v130
	v_sub_f16_e32 v112, v130, v113
	v_sub_f16_e32 v113, v110, v116
	;; [unrolled: 1-line block ×3, first 2 shown]
	buffer_gl0_inv
	ds_read_u16 v68, v29 offset:2254
	ds_read_u16 v69, v29 offset:2940
	;; [unrolled: 1-line block ×6, first 2 shown]
	ds_read_u16 v38, v29
	ds_read_u16 v37, v29 offset:98
	ds_read_u16 v27, v29 offset:196
	;; [unrolled: 1-line block ×42, first 2 shown]
	s_waitcnt lgkmcnt(0)
	s_barrier
	buffer_gl0_inv
	ds_write_b16 v160, v153
	ds_write_b16 v160, v158 offset:14
	ds_write_b16 v160, v156 offset:28
	;; [unrolled: 1-line block ×6, first 2 shown]
	ds_write_b16 v105, v114
	ds_write_b16 v105, v113 offset:14
	ds_write_b16 v105, v130 offset:28
	;; [unrolled: 1-line block ×4, first 2 shown]
	v_add_f16_e32 v111, v121, v145
	v_add_f16_e32 v112, v126, v144
	;; [unrolled: 1-line block ×5, first 2 shown]
	v_sub_f16_e32 v114, v122, v143
	v_add_f16_e32 v115, v112, v111
	v_sub_f16_e32 v116, v127, v124
	ds_write_b16 v105, v104 offset:70
	v_sub_f16_e32 v104, v123, v146
	v_sub_f16_e32 v121, v112, v111
	;; [unrolled: 1-line block ×4, first 2 shown]
	v_add_f16_e32 v113, v113, v115
	v_add_f16_e32 v115, v116, v114
	v_sub_f16_e32 v122, v116, v114
	v_sub_f16_e32 v114, v114, v104
	;; [unrolled: 1-line block ×3, first 2 shown]
	v_mul_f16_e32 v111, 0x3a52, v111
	v_mul_f16_e32 v123, 0x2b26, v112
	v_add_f16_e32 v104, v115, v104
	v_add_f16_e32 v115, v151, v113
	v_mul_f16_e32 v122, 0xb846, v122
	v_mul_f16_e32 v124, 0x3b00, v114
	v_fmamk_f16 v112, v112, 0x2b26, v111
	v_fma_f16 v123, v121, 0x39e0, -v123
	v_fmamk_f16 v113, v113, 0xbcab, v115
	v_fma_f16 v111, v121, 0xb9e0, -v111
	;; [unrolled: 2-line block ×3, first 2 shown]
	v_fma_f16 v114, v114, 0x3b00, -v122
	v_add_f16_e32 v112, v112, v113
	v_add_f16_e32 v111, v111, v113
	v_fmac_f16_e32 v121, 0x370e, v104
	v_fmac_f16_e32 v116, 0x370e, v104
	v_add_f16_e32 v122, v123, v113
	v_fmac_f16_e32 v114, 0x370e, v104
	v_add_f16_e32 v98, v98, v140
	v_add_f16_e32 v101, v101, v139
	ds_write_b16 v105, v110 offset:84
	v_sub_f16_e32 v110, v112, v121
	v_add_f16_e32 v82, v92, v82
	v_add_f16_e32 v81, v93, v81
	v_sub_f16_e32 v113, v111, v116
	v_add_f16_e32 v91, v91, v97
	v_add_f16_e32 v104, v114, v122
	v_sub_f16_e32 v105, v122, v114
	v_add_f16_e32 v111, v116, v111
	ds_write_b16 v106, v115
	ds_write_b16 v106, v110 offset:14
	ds_write_b16 v106, v113 offset:28
	;; [unrolled: 1-line block ×4, first 2 shown]
	v_sub_f16_e32 v100, v100, v141
	v_add_f16_e32 v102, v102, v119
	v_sub_f16_e32 v99, v99, v137
	v_add_f16_e32 v104, v101, v98
	v_sub_f16_e32 v105, v118, v117
	v_sub_f16_e32 v80, v95, v80
	v_add_f16_e32 v92, v81, v82
	v_sub_f16_e32 v93, v96, v94
	v_sub_f16_e32 v90, v90, v129
	;; [unrolled: 1-line block ×4, first 2 shown]
	ds_write_b16 v106, v111 offset:70
	v_sub_f16_e32 v110, v101, v98
	v_sub_f16_e32 v98, v98, v102
	;; [unrolled: 1-line block ×3, first 2 shown]
	v_add_f16_e32 v102, v102, v104
	v_add_f16_e32 v104, v105, v99
	v_sub_f16_e32 v111, v105, v99
	v_sub_f16_e32 v99, v99, v100
	;; [unrolled: 1-line block ×3, first 2 shown]
	v_add_f16_e32 v91, v91, v92
	v_add_f16_e32 v92, v93, v80
	v_sub_f16_e32 v95, v93, v80
	v_sub_f16_e32 v80, v80, v90
	v_mul_f16_e32 v96, 0x2b26, v81
	v_sub_f16_e32 v105, v100, v105
	v_mul_f16_e32 v98, 0x3a52, v98
	v_mul_f16_e32 v113, 0x2b26, v101
	v_add_f16_e32 v100, v104, v100
	v_add_f16_e32 v104, v142, v102
	v_mul_f16_e32 v111, 0xb846, v111
	v_mul_f16_e32 v114, 0x3b00, v99
	v_sub_f16_e32 v93, v90, v93
	v_mul_f16_e32 v82, 0x3a52, v82
	v_add_f16_e32 v90, v92, v90
	v_add_f16_e32 v35, v35, v91
	v_mul_f16_e32 v92, 0xb846, v95
	v_fma_f16 v95, v94, 0x39e0, -v96
	v_mul_f16_e32 v96, 0x3b00, v80
	v_fmamk_f16 v101, v101, 0x2b26, v98
	v_fma_f16 v113, v110, 0x39e0, -v113
	v_fmamk_f16 v102, v102, 0xbcab, v104
	v_fma_f16 v98, v110, 0xb9e0, -v98
	;; [unrolled: 2-line block ×3, first 2 shown]
	v_fmamk_f16 v81, v81, 0x2b26, v82
	v_fmamk_f16 v91, v91, 0xbcab, v35
	v_fma_f16 v80, v80, 0x3b00, -v92
	v_fmamk_f16 v92, v93, 0x3574, v92
	v_fma_f16 v82, v94, 0xb9e0, -v82
	v_fma_f16 v93, v93, 0xb574, -v96
	;; [unrolled: 1-line block ×3, first 2 shown]
	v_add_f16_e32 v112, v121, v112
	v_add_f16_e32 v101, v101, v102
	;; [unrolled: 1-line block ×3, first 2 shown]
	v_fmac_f16_e32 v110, 0x370e, v100
	v_fmac_f16_e32 v105, 0x370e, v100
	v_add_f16_e32 v81, v81, v91
	v_fmac_f16_e32 v92, 0x370e, v90
	v_add_f16_e32 v94, v95, v91
	;; [unrolled: 2-line block ×4, first 2 shown]
	v_fmac_f16_e32 v99, 0x370e, v100
	ds_write_b16 v106, v112 offset:84
	v_sub_f16_e32 v102, v101, v110
	v_sub_f16_e32 v106, v98, v105
	v_add_f16_e32 v98, v105, v98
	v_add_f16_e32 v101, v110, v101
	v_sub_f16_e32 v91, v81, v92
	v_add_f16_e32 v90, v80, v94
	v_sub_f16_e32 v80, v94, v80
	v_sub_f16_e32 v94, v82, v93
	v_add_f16_e32 v100, v99, v111
	v_sub_f16_e32 v99, v111, v99
	ds_write_b16 v107, v104
	ds_write_b16 v107, v102 offset:14
	ds_write_b16 v107, v106 offset:28
	;; [unrolled: 1-line block ×6, first 2 shown]
	v_add_f16_e32 v82, v93, v82
	ds_write_b16 v108, v35
	ds_write_b16 v108, v91 offset:14
	ds_write_b16 v108, v94 offset:28
	;; [unrolled: 1-line block ×4, first 2 shown]
	v_add_f16_e32 v35, v83, v79
	v_add_f16_e32 v77, v85, v77
	;; [unrolled: 1-line block ×5, first 2 shown]
	ds_write_b16 v108, v82 offset:70
	v_sub_f16_e32 v78, v84, v78
	v_sub_f16_e32 v36, v76, v36
	v_add_f16_e32 v76, v77, v35
	v_sub_f16_e32 v80, v88, v86
	v_sub_f16_e32 v82, v77, v35
	;; [unrolled: 1-line block ×4, first 2 shown]
	v_add_f16_e32 v13, v13, v14
	v_sub_f16_e32 v10, v10, v19
	v_add_f16_e32 v14, v12, v4
	v_sub_f16_e32 v5, v16, v5
	v_sub_f16_e32 v35, v35, v79
	v_add_f16_e32 v76, v79, v76
	v_add_f16_e32 v79, v80, v36
	v_sub_f16_e32 v83, v80, v36
	v_sub_f16_e32 v36, v36, v78
	v_mul_f16_e32 v84, 0x2b26, v77
	v_sub_f16_e32 v16, v12, v4
	v_sub_f16_e32 v4, v4, v13
	;; [unrolled: 1-line block ×3, first 2 shown]
	v_add_f16_e32 v13, v13, v14
	v_add_f16_e32 v14, v5, v10
	v_sub_f16_e32 v19, v5, v10
	v_sub_f16_e32 v10, v10, v11
	;; [unrolled: 1-line block ×3, first 2 shown]
	v_mul_f16_e32 v35, 0x3a52, v35
	v_add_f16_e32 v78, v79, v78
	v_add_f16_e32 v33, v33, v76
	v_mul_f16_e32 v79, 0xb846, v83
	v_fma_f16 v83, v82, 0x39e0, -v84
	v_mul_f16_e32 v84, 0x3b00, v36
	v_sub_f16_e32 v5, v11, v5
	v_mul_f16_e32 v4, 0x3a52, v4
	v_mul_f16_e32 v21, 0x2b26, v12
	v_add_f16_e32 v11, v14, v11
	v_add_f16_e32 v14, v120, v13
	v_mul_f16_e32 v19, 0xb846, v19
	v_mul_f16_e32 v32, 0x3b00, v10
	v_fmamk_f16 v77, v77, 0x2b26, v35
	v_fmamk_f16 v76, v76, 0xbcab, v33
	v_fma_f16 v35, v82, 0xb9e0, -v35
	v_fma_f16 v36, v36, 0x3b00, -v79
	v_fmamk_f16 v79, v80, 0x3574, v79
	v_fma_f16 v80, v80, 0xb574, -v84
	v_fmamk_f16 v12, v12, 0x2b26, v4
	;; [unrolled: 2-line block ×3, first 2 shown]
	v_fma_f16 v4, v16, 0xb9e0, -v4
	v_fma_f16 v10, v10, 0x3b00, -v19
	v_fmamk_f16 v16, v5, 0x3574, v19
	v_fma_f16 v5, v5, 0xb574, -v32
	v_add_f16_e32 v81, v92, v81
	v_add_f16_e32 v77, v77, v76
	;; [unrolled: 1-line block ×3, first 2 shown]
	v_fmac_f16_e32 v79, 0x370e, v78
	v_fmac_f16_e32 v80, 0x370e, v78
	v_add_f16_e32 v12, v12, v13
	v_add_f16_e32 v19, v21, v13
	v_fmac_f16_e32 v10, 0x370e, v11
	v_add_f16_e32 v4, v4, v13
	v_fmac_f16_e32 v16, 0x370e, v11
	v_fmac_f16_e32 v5, 0x370e, v11
	v_add_f16_e32 v82, v83, v76
	v_fmac_f16_e32 v36, 0x370e, v78
	ds_write_b16 v108, v81 offset:84
	v_sub_f16_e32 v78, v77, v79
	v_sub_f16_e32 v81, v35, v80
	v_add_f16_e32 v35, v80, v35
	v_add_f16_e32 v77, v79, v77
	;; [unrolled: 1-line block ×3, first 2 shown]
	v_sub_f16_e32 v10, v19, v10
	v_sub_f16_e32 v13, v12, v16
	;; [unrolled: 1-line block ×3, first 2 shown]
	v_add_f16_e32 v4, v5, v4
	v_add_f16_e32 v5, v16, v12
	v_mul_lo_u16 v12, 0x4f, v51
	v_add_f16_e32 v76, v36, v82
	v_sub_f16_e32 v36, v82, v36
	ds_write_b16 v109, v33
	ds_write_b16 v109, v78 offset:14
	ds_write_b16 v109, v81 offset:28
	;; [unrolled: 1-line block ×6, first 2 shown]
	ds_write_b16 v103, v14
	ds_write_b16 v103, v13 offset:14
	ds_write_b16 v103, v19 offset:28
	;; [unrolled: 1-line block ×4, first 2 shown]
	v_lshrrev_b16 v10, 8, v12
	ds_write_b16 v103, v4 offset:70
	ds_write_b16 v103, v5 offset:84
	v_mul_lo_u16 v5, 0x4f, v52
	v_mul_u32_u24_e32 v11, 6, v28
	s_waitcnt lgkmcnt(0)
	v_sub_nc_u16 v4, v49, v10
	s_barrier
	v_lshrrev_b16 v5, 8, v5
	v_lshlrev_b32_e32 v12, 2, v11
	v_mul_lo_u16 v11, 0x4f, v53
	v_lshrrev_b16 v4, 1, v4
	buffer_gl0_inv
	global_load_dwordx4 v[76:79], v12, s[8:9] offset:168
	v_lshrrev_b16 v11, 8, v11
	v_and_b32_e32 v4, 0x7f, v4
	v_add_nc_u16 v4, v4, v10
	v_sub_nc_u16 v10, v50, v5
	v_lshrrev_b16 v4, 5, v4
	v_lshrrev_b16 v10, 1, v10
	v_mul_lo_u16 v4, v4, 49
	v_and_b32_e32 v10, 0x7f, v10
	v_sub_nc_u16 v4, v49, v4
	v_and_b32_e32 v32, 0xff, v4
	v_add_nc_u16 v4, v10, v5
	v_sub_nc_u16 v5, v46, v11
	v_mul_u32_u24_e32 v10, 6, v32
	v_lshrrev_b16 v4, 5, v4
	v_lshrrev_b16 v5, 1, v5
	v_lshlrev_b32_e32 v10, 2, v10
	v_mul_lo_u16 v4, v4, 49
	v_and_b32_e32 v5, 0x7f, v5
	global_load_dwordx4 v[80:83], v10, s[8:9] offset:168
	v_sub_nc_u16 v4, v50, v4
	v_add_nc_u16 v5, v5, v11
	v_mov_b32_e32 v11, 0x4e5f
	v_and_b32_e32 v34, 0xff, v4
	v_lshrrev_b16 v4, 5, v5
	v_mul_u32_u24_sdwa v5, v47, v11 dst_sel:DWORD dst_unused:UNUSED_PAD src0_sel:WORD_0 src1_sel:DWORD
	v_mul_u32_u24_sdwa v11, v48, v11 dst_sel:DWORD dst_unused:UNUSED_PAD src0_sel:WORD_0 src1_sel:DWORD
	v_mul_u32_u24_e32 v13, 6, v34
	v_mul_lo_u16 v4, v4, 49
	v_lshrrev_b32_e32 v5, 16, v5
	v_lshlrev_b32_e32 v13, 2, v13
	v_sub_nc_u16 v4, v46, v4
	v_sub_nc_u16 v14, v47, v5
	global_load_dwordx4 v[49:52], v13, s[8:9] offset:168
	v_and_b32_e32 v33, 0xff, v4
	v_lshrrev_b16 v4, 1, v14
	v_mul_u32_u24_e32 v14, 6, v33
	v_add_nc_u16 v4, v4, v5
	v_lshrrev_b32_e32 v5, 16, v11
	v_lshlrev_b32_e32 v11, 2, v14
	v_lshrrev_b16 v4, 5, v4
	v_sub_nc_u16 v14, v48, v5
	global_load_dwordx4 v[92:95], v11, s[8:9] offset:168
	v_mul_lo_u16 v4, v4, 49
	v_lshrrev_b16 v14, 1, v14
	v_sub_nc_u16 v4, v47, v4
	v_add_nc_u16 v5, v14, v5
	v_and_b32_e32 v36, 0xffff, v4
	v_lshrrev_b16 v4, 5, v5
	v_mul_u32_u24_e32 v5, 6, v36
	v_mul_lo_u16 v4, v4, 49
	v_lshlrev_b32_e32 v5, 2, v5
	v_sub_nc_u16 v4, v48, v4
	global_load_dwordx4 v[110:113], v5, s[8:9] offset:168
	v_and_b32_e32 v35, 0xffff, v4
	v_mul_u32_u24_e32 v4, 6, v35
	v_lshlrev_b32_e32 v4, 2, v4
	s_clause 0x6
	global_load_dwordx4 v[114:117], v4, s[8:9] offset:168
	global_load_dwordx2 v[96:97], v12, s[8:9] offset:184
	global_load_dwordx2 v[118:119], v10, s[8:9] offset:184
	;; [unrolled: 1-line block ×6, first 2 shown]
	ds_read_u16 v5, v29 offset:686
	ds_read_u16 v10, v29 offset:1372
	;; [unrolled: 1-line block ×20, first 2 shown]
	s_waitcnt vmcnt(11) lgkmcnt(19)
	v_mul_f16_sdwa v13, v5, v76 dst_sel:DWORD dst_unused:UNUSED_PAD src0_sel:DWORD src1_sel:WORD_1
	v_mul_f16_sdwa v16, v17, v77 dst_sel:DWORD dst_unused:UNUSED_PAD src0_sel:DWORD src1_sel:WORD_1
	;; [unrolled: 1-line block ×3, first 2 shown]
	s_waitcnt lgkmcnt(18)
	v_mul_f16_sdwa v19, v10, v77 dst_sel:DWORD dst_unused:UNUSED_PAD src0_sel:DWORD src1_sel:WORD_1
	s_waitcnt lgkmcnt(17)
	v_mul_f16_sdwa v21, v11, v78 dst_sel:DWORD dst_unused:UNUSED_PAD src0_sel:DWORD src1_sel:WORD_1
	v_fma_f16 v13, v18, v76, -v13
	v_mul_f16_sdwa v18, v20, v78 dst_sel:DWORD dst_unused:UNUSED_PAD src0_sel:DWORD src1_sel:WORD_1
	v_fmac_f16_e32 v16, v10, v77
	s_waitcnt lgkmcnt(15)
	v_mul_f16_sdwa v10, v53, v79 dst_sel:DWORD dst_unused:UNUSED_PAD src0_sel:DWORD src1_sel:WORD_1
	v_fma_f16 v19, v17, v77, -v19
	v_fma_f16 v17, v20, v78, -v21
	v_fmac_f16_e32 v18, v11, v78
	v_mul_f16_sdwa v20, v9, v79 dst_sel:DWORD dst_unused:UNUSED_PAD src0_sel:DWORD src1_sel:WORD_1
	s_waitcnt lgkmcnt(12)
	v_mul_f16_sdwa v11, v85, v76 dst_sel:DWORD dst_unused:UNUSED_PAD src0_sel:DWORD src1_sel:WORD_1
	v_fma_f16 v21, v9, v79, -v10
	v_mul_f16_sdwa v9, v84, v77 dst_sel:DWORD dst_unused:UNUSED_PAD src0_sel:DWORD src1_sel:WORD_1
	v_fmac_f16_e32 v14, v5, v76
	v_mul_f16_sdwa v5, v6, v76 dst_sel:DWORD dst_unused:UNUSED_PAD src0_sel:DWORD src1_sel:WORD_1
	v_fma_f16 v6, v6, v76, -v11
	v_mul_f16_sdwa v10, v7, v77 dst_sel:DWORD dst_unused:UNUSED_PAD src0_sel:DWORD src1_sel:WORD_1
	s_waitcnt lgkmcnt(11)
	v_mul_f16_sdwa v11, v86, v78 dst_sel:DWORD dst_unused:UNUSED_PAD src0_sel:DWORD src1_sel:WORD_1
	v_fma_f16 v7, v7, v77, -v9
	v_mul_f16_sdwa v9, v8, v78 dst_sel:DWORD dst_unused:UNUSED_PAD src0_sel:DWORD src1_sel:WORD_1
	v_fmac_f16_e32 v20, v53, v79
	s_waitcnt lgkmcnt(8)
	v_mul_f16_sdwa v53, v88, v79 dst_sel:DWORD dst_unused:UNUSED_PAD src0_sel:DWORD src1_sel:WORD_1
	v_fmac_f16_e32 v5, v85, v76
	v_fma_f16 v8, v8, v78, -v11
	v_fmac_f16_e32 v9, v86, v78
	ds_read_u16 v78, v29 offset:1666
	ds_read_u16 v85, v29 offset:1764
	;; [unrolled: 1-line block ×3, first 2 shown]
	v_mul_f16_sdwa v11, v15, v79 dst_sel:DWORD dst_unused:UNUSED_PAD src0_sel:DWORD src1_sel:WORD_1
	v_fma_f16 v15, v15, v79, -v53
	ds_read_u16 v53, v29 offset:2352
	v_fmac_f16_e32 v10, v84, v77
	v_fmac_f16_e32 v11, v88, v79
	s_waitcnt vmcnt(10) lgkmcnt(8)
	v_mul_f16_sdwa v76, v91, v80 dst_sel:DWORD dst_unused:UNUSED_PAD src0_sel:DWORD src1_sel:WORD_1
	s_waitcnt lgkmcnt(4)
	v_mul_f16_sdwa v84, v98, v81 dst_sel:DWORD dst_unused:UNUSED_PAD src0_sel:DWORD src1_sel:WORD_1
	v_mul_f16_sdwa v77, v74, v80 dst_sel:DWORD dst_unused:UNUSED_PAD src0_sel:DWORD src1_sel:WORD_1
	;; [unrolled: 1-line block ×4, first 2 shown]
	v_fma_f16 v136, v74, v80, -v76
	v_fma_f16 v137, v75, v81, -v84
	v_mul_f16_sdwa v74, v87, v82 dst_sel:DWORD dst_unused:UNUSED_PAD src0_sel:DWORD src1_sel:WORD_1
	v_mul_f16_sdwa v75, v89, v83 dst_sel:DWORD dst_unused:UNUSED_PAD src0_sel:DWORD src1_sel:WORD_1
	;; [unrolled: 1-line block ×3, first 2 shown]
	v_fmac_f16_e32 v138, v98, v81
	v_fmac_f16_e32 v77, v91, v80
	v_fma_f16 v141, v68, v82, -v74
	ds_read_u16 v74, v29 offset:2450
	v_fma_f16 v142, v69, v83, -v75
	v_fmac_f16_e32 v139, v87, v82
	v_fmac_f16_e32 v140, v89, v83
	s_waitcnt vmcnt(9)
	v_mul_f16_sdwa v68, v99, v49 dst_sel:DWORD dst_unused:UNUSED_PAD src0_sel:DWORD src1_sel:WORD_1
	v_mul_f16_sdwa v98, v72, v49 dst_sel:DWORD dst_unused:UNUSED_PAD src0_sel:DWORD src1_sel:WORD_1
	s_waitcnt lgkmcnt(4)
	v_mul_f16_sdwa v69, v78, v50 dst_sel:DWORD dst_unused:UNUSED_PAD src0_sel:DWORD src1_sel:WORD_1
	v_mul_f16_sdwa v102, v73, v50 dst_sel:DWORD dst_unused:UNUSED_PAD src0_sel:DWORD src1_sel:WORD_1
	;; [unrolled: 1-line block ×3, first 2 shown]
	v_fma_f16 v101, v72, v49, -v68
	v_fmac_f16_e32 v98, v99, v49
	ds_read_u16 v49, v29 offset:2548
	v_fma_f16 v99, v73, v50, -v69
	ds_read_u16 v69, v29 offset:3136
	v_fmac_f16_e32 v102, v78, v50
	s_waitcnt lgkmcnt(3)
	v_mul_f16_sdwa v50, v53, v51 dst_sel:DWORD dst_unused:UNUSED_PAD src0_sel:DWORD src1_sel:WORD_1
	v_mul_f16_sdwa v68, v90, v52 dst_sel:DWORD dst_unused:UNUSED_PAD src0_sel:DWORD src1_sel:WORD_1
	v_mul_f16_sdwa v109, v67, v52 dst_sel:DWORD dst_unused:UNUSED_PAD src0_sel:DWORD src1_sel:WORD_1
	v_fmac_f16_e32 v105, v53, v51
	s_waitcnt vmcnt(8)
	v_mul_f16_sdwa v72, v100, v92 dst_sel:DWORD dst_unused:UNUSED_PAD src0_sel:DWORD src1_sel:WORD_1
	v_fma_f16 v106, v71, v51, -v50
	v_fma_f16 v108, v67, v52, -v68
	v_fmac_f16_e32 v109, v90, v52
	v_mul_f16_sdwa v90, v70, v92 dst_sel:DWORD dst_unused:UNUSED_PAD src0_sel:DWORD src1_sel:WORD_1
	v_fma_f16 v84, v70, v92, -v72
	ds_read_u16 v52, v29 offset:3626
	ds_read_u16 v53, v29 offset:3724
	;; [unrolled: 1-line block ×7, first 2 shown]
	v_mul_f16_sdwa v50, v85, v93 dst_sel:DWORD dst_unused:UNUSED_PAD src0_sel:DWORD src1_sel:WORD_1
	s_waitcnt lgkmcnt(9)
	v_mul_f16_sdwa v51, v74, v94 dst_sel:DWORD dst_unused:UNUSED_PAD src0_sel:DWORD src1_sel:WORD_1
	v_mul_f16_sdwa v91, v64, v93 dst_sel:DWORD dst_unused:UNUSED_PAD src0_sel:DWORD src1_sel:WORD_1
	v_fmac_f16_e32 v90, v100, v92
	v_mul_f16_sdwa v87, v66, v94 dst_sel:DWORD dst_unused:UNUSED_PAD src0_sel:DWORD src1_sel:WORD_1
	v_fma_f16 v103, v64, v93, -v50
	v_fma_f16 v100, v66, v94, -v51
	v_fmac_f16_e32 v91, v85, v93
	s_waitcnt lgkmcnt(7)
	v_mul_f16_sdwa v73, v69, v95 dst_sel:DWORD dst_unused:UNUSED_PAD src0_sel:DWORD src1_sel:WORD_1
	v_mul_f16_sdwa v107, v65, v95 dst_sel:DWORD dst_unused:UNUSED_PAD src0_sel:DWORD src1_sel:WORD_1
	v_fmac_f16_e32 v87, v74, v94
	v_sub_f16_e32 v93, v140, v139
	v_fma_f16 v104, v65, v95, -v73
	v_fmac_f16_e32 v107, v69, v95
	s_waitcnt vmcnt(7)
	v_mul_f16_sdwa v50, v129, v110 dst_sel:DWORD dst_unused:UNUSED_PAD src0_sel:DWORD src1_sel:WORD_1
	v_mul_f16_sdwa v80, v26, v110 dst_sel:DWORD dst_unused:UNUSED_PAD src0_sel:DWORD src1_sel:WORD_1
	;; [unrolled: 1-line block ×5, first 2 shown]
	v_fma_f16 v82, v26, v110, -v50
	v_mul_f16_sdwa v26, v49, v112 dst_sel:DWORD dst_unused:UNUSED_PAD src0_sel:DWORD src1_sel:WORD_1
	s_waitcnt lgkmcnt(3)
	v_mul_f16_sdwa v50, v67, v113 dst_sel:DWORD dst_unused:UNUSED_PAD src0_sel:DWORD src1_sel:WORD_1
	v_fma_f16 v81, v63, v111, -v51
	ds_read_u16 v51, v29 offset:4116
	v_fmac_f16_e32 v86, v49, v112
	v_fma_f16 v85, v22, v112, -v26
	v_fma_f16 v88, v23, v113, -v50
	s_waitcnt vmcnt(6)
	v_mul_f16_sdwa v26, v126, v114 dst_sel:DWORD dst_unused:UNUSED_PAD src0_sel:DWORD src1_sel:WORD_1
	v_mul_f16_sdwa v50, v128, v116 dst_sel:DWORD dst_unused:UNUSED_PAD src0_sel:DWORD src1_sel:WORD_1
	;; [unrolled: 1-line block ×5, first 2 shown]
	v_fma_f16 v26, v24, v114, -v26
	v_fma_f16 v24, v62, v116, -v50
	ds_read_u16 v50, v29 offset:4214
	v_fma_f16 v25, v25, v115, -v49
	s_waitcnt lgkmcnt(4)
	v_mul_f16_sdwa v49, v68, v117 dst_sel:DWORD dst_unused:UNUSED_PAD src0_sel:DWORD src1_sel:WORD_1
	v_mul_f16_sdwa v83, v63, v111 dst_sel:DWORD dst_unused:UNUSED_PAD src0_sel:DWORD src1_sel:WORD_1
	;; [unrolled: 1-line block ×3, first 2 shown]
	v_fmac_f16_e32 v89, v67, v113
	s_waitcnt vmcnt(5)
	v_mul_f16_sdwa v78, v60, v97 dst_sel:DWORD dst_unused:UNUSED_PAD src0_sel:DWORD src1_sel:WORD_1
	v_fma_f16 v64, v61, v117, -v49
	ds_read_u16 v49, v29 offset:4312
	ds_read_u16 v61, v29 offset:4410
	;; [unrolled: 1-line block ×5, first 2 shown]
	v_fmac_f16_e32 v63, v68, v117
	s_waitcnt lgkmcnt(6)
	v_mul_f16_sdwa v67, v51, v97 dst_sel:DWORD dst_unused:UNUSED_PAD src0_sel:DWORD src1_sel:WORD_1
	v_mul_f16_sdwa v68, v70, v96 dst_sel:DWORD dst_unused:UNUSED_PAD src0_sel:DWORD src1_sel:WORD_1
	v_fmac_f16_e32 v78, v51, v97
	v_mul_f16_sdwa v65, v72, v96 dst_sel:DWORD dst_unused:UNUSED_PAD src0_sel:DWORD src1_sel:WORD_1
	v_mul_f16_sdwa v69, v57, v97 dst_sel:DWORD dst_unused:UNUSED_PAD src0_sel:DWORD src1_sel:WORD_1
	v_fma_f16 v79, v60, v97, -v67
	v_fma_f16 v67, v58, v96, -v68
	v_mul_f16_sdwa v68, v58, v96 dst_sel:DWORD dst_unused:UNUSED_PAD src0_sel:DWORD src1_sel:WORD_1
	v_mul_f16_sdwa v74, v59, v96 dst_sel:DWORD dst_unused:UNUSED_PAD src0_sel:DWORD src1_sel:WORD_1
	v_fma_f16 v76, v59, v96, -v65
	s_waitcnt lgkmcnt(5)
	v_mul_f16_sdwa v51, v50, v97 dst_sel:DWORD dst_unused:UNUSED_PAD src0_sel:DWORD src1_sel:WORD_1
	s_waitcnt vmcnt(4)
	v_mul_f16_sdwa v59, v54, v118 dst_sel:DWORD dst_unused:UNUSED_PAD src0_sel:DWORD src1_sel:WORD_1
	v_fmac_f16_e32 v68, v70, v96
	v_fmac_f16_e32 v69, v50, v97
	s_waitcnt lgkmcnt(4)
	v_mul_f16_sdwa v50, v49, v119 dst_sel:DWORD dst_unused:UNUSED_PAD src0_sel:DWORD src1_sel:WORD_1
	v_fma_f16 v70, v57, v97, -v51
	v_mul_f16_sdwa v57, v56, v119 dst_sel:DWORD dst_unused:UNUSED_PAD src0_sel:DWORD src1_sel:WORD_1
	ds_read_u16 v51, v29 offset:3920
	v_mul_f16_sdwa v58, v52, v118 dst_sel:DWORD dst_unused:UNUSED_PAD src0_sel:DWORD src1_sel:WORD_1
	v_fmac_f16_e32 v59, v52, v118
	s_waitcnt vmcnt(3)
	v_mul_f16_sdwa v52, v53, v120 dst_sel:DWORD dst_unused:UNUSED_PAD src0_sel:DWORD src1_sel:WORD_1
	v_fmac_f16_e32 v57, v49, v119
	ds_read_u16 v49, v29 offset:4704
	v_fmac_f16_e32 v83, v130, v111
	v_mul_f16_sdwa v131, v41, v120 dst_sel:DWORD dst_unused:UNUSED_PAD src0_sel:DWORD src1_sel:WORD_1
	v_fma_f16 v130, v41, v120, -v52
	s_waitcnt vmcnt(2)
	v_mul_f16_sdwa v41, v71, v122 dst_sel:DWORD dst_unused:UNUSED_PAD src0_sel:DWORD src1_sel:WORD_1
	v_fmac_f16_e32 v22, v126, v114
	v_fmac_f16_e32 v23, v127, v115
	v_mul_f16_sdwa v62, v62, v116 dst_sel:DWORD dst_unused:UNUSED_PAD src0_sel:DWORD src1_sel:WORD_1
	v_fma_f16 v56, v56, v119, -v50
	v_mul_f16_sdwa v127, v39, v122 dst_sel:DWORD dst_unused:UNUSED_PAD src0_sel:DWORD src1_sel:WORD_1
	s_waitcnt lgkmcnt(4)
	v_mul_f16_sdwa v50, v66, v123 dst_sel:DWORD dst_unused:UNUSED_PAD src0_sel:DWORD src1_sel:WORD_1
	v_fma_f16 v126, v39, v122, -v41
	s_waitcnt vmcnt(1) lgkmcnt(3)
	v_mul_f16_sdwa v41, v73, v125 dst_sel:DWORD dst_unused:UNUSED_PAD src0_sel:DWORD src1_sel:WORD_1
	v_fmac_f16_e32 v80, v129, v110
	v_fmac_f16_e32 v62, v128, v116
	s_waitcnt lgkmcnt(1)
	v_mul_f16_sdwa v39, v51, v124 dst_sel:DWORD dst_unused:UNUSED_PAD src0_sel:DWORD src1_sel:WORD_1
	v_fmac_f16_e32 v74, v72, v96
	v_fma_f16 v54, v54, v118, -v58
	v_mul_f16_sdwa v128, v44, v123 dst_sel:DWORD dst_unused:UNUSED_PAD src0_sel:DWORD src1_sel:WORD_1
	v_fma_f16 v129, v44, v123, -v50
	v_mul_f16_sdwa v117, v40, v124 dst_sel:DWORD dst_unused:UNUSED_PAD src0_sel:DWORD src1_sel:WORD_1
	v_mul_f16_sdwa v118, v42, v125 dst_sel:DWORD dst_unused:UNUSED_PAD src0_sel:DWORD src1_sel:WORD_1
	s_waitcnt vmcnt(0)
	v_mul_f16_sdwa v44, v75, v134 dst_sel:DWORD dst_unused:UNUSED_PAD src0_sel:DWORD src1_sel:WORD_1
	v_fma_f16 v116, v40, v124, -v39
	v_fma_f16 v119, v42, v125, -v41
	v_mul_f16_sdwa v72, v45, v134 dst_sel:DWORD dst_unused:UNUSED_PAD src0_sel:DWORD src1_sel:WORD_1
	s_waitcnt lgkmcnt(0)
	v_mul_f16_sdwa v39, v49, v135 dst_sel:DWORD dst_unused:UNUSED_PAD src0_sel:DWORD src1_sel:WORD_1
	v_add_f16_e32 v40, v13, v79
	v_add_f16_e32 v41, v19, v76
	v_fmac_f16_e32 v127, v71, v122
	v_fmac_f16_e32 v118, v73, v125
	v_fma_f16 v71, v45, v134, -v44
	v_mul_f16_sdwa v73, v43, v135 dst_sel:DWORD dst_unused:UNUSED_PAD src0_sel:DWORD src1_sel:WORD_1
	v_fmac_f16_e32 v72, v75, v134
	v_fma_f16 v75, v43, v135, -v39
	v_add_f16_e32 v39, v17, v21
	v_add_f16_e32 v42, v41, v40
	v_sub_f16_e32 v44, v16, v74
	v_sub_f16_e32 v45, v20, v18
	v_fmac_f16_e32 v73, v49, v135
	v_sub_f16_e32 v43, v41, v40
	v_sub_f16_e32 v40, v40, v39
	;; [unrolled: 1-line block ×4, first 2 shown]
	v_add_f16_e32 v39, v39, v42
	v_add_f16_e32 v42, v45, v44
	v_sub_f16_e32 v50, v45, v44
	v_sub_f16_e32 v45, v49, v45
	;; [unrolled: 1-line block ×3, first 2 shown]
	v_add_f16_e32 v38, v38, v39
	v_add_f16_e32 v42, v42, v49
	v_mul_f16_e32 v49, 0x2b26, v41
	v_mul_f16_e32 v50, 0xb846, v50
	v_fmac_f16_e32 v117, v51, v124
	v_mul_f16_e32 v40, 0x3a52, v40
	v_mul_f16_e32 v51, 0x3b00, v44
	v_fma_f16 v49, v43, 0x39e0, -v49
	v_fmamk_f16 v39, v39, 0xbcab, v38
	v_fma_f16 v44, v44, 0x3b00, -v50
	v_fmamk_f16 v41, v41, 0x2b26, v40
	v_fma_f16 v40, v43, 0xb9e0, -v40
	v_fma_f16 v43, v45, 0xb574, -v51
	v_fmamk_f16 v45, v45, 0x3574, v50
	v_add_f16_e32 v49, v49, v39
	v_fmac_f16_e32 v44, 0x370e, v42
	v_mul_f16_sdwa v58, v61, v121 dst_sel:DWORD dst_unused:UNUSED_PAD src0_sel:DWORD src1_sel:WORD_1
	v_add_f16_e32 v50, v40, v39
	v_fmac_f16_e32 v43, 0x370e, v42
	v_add_f16_e32 v51, v41, v39
	v_fmac_f16_e32 v45, 0x370e, v42
	v_sub_f16_e32 v39, v49, v44
	v_add_f16_e32 v40, v44, v49
	v_add_f16_e32 v49, v6, v70
	;; [unrolled: 1-line block ×3, first 2 shown]
	v_fmac_f16_e32 v131, v53, v120
	v_fma_f16 v132, v55, v121, -v58
	v_mul_f16_sdwa v133, v55, v121 dst_sel:DWORD dst_unused:UNUSED_PAD src0_sel:DWORD src1_sel:WORD_1
	v_add_f16_e32 v41, v43, v50
	v_sub_f16_e32 v42, v50, v43
	v_add_f16_e32 v44, v45, v51
	v_sub_f16_e32 v43, v51, v45
	v_add_f16_e32 v45, v8, v15
	v_add_f16_e32 v50, v52, v49
	v_sub_f16_e32 v53, v10, v68
	v_sub_f16_e32 v55, v11, v9
	;; [unrolled: 1-line block ×6, first 2 shown]
	v_add_f16_e32 v45, v45, v50
	v_add_f16_e32 v50, v55, v53
	v_sub_f16_e32 v60, v55, v53
	v_sub_f16_e32 v53, v53, v58
	v_fmac_f16_e32 v133, v61, v121
	v_sub_f16_e32 v55, v58, v55
	v_mul_f16_e32 v49, 0x3a52, v49
	v_add_f16_e32 v50, v50, v58
	v_mul_f16_e32 v58, 0x2b26, v52
	v_add_f16_e32 v37, v37, v45
	v_mul_f16_e32 v60, 0xb846, v60
	v_mul_f16_e32 v61, 0x3b00, v53
	v_fmamk_f16 v52, v52, 0x2b26, v49
	v_fma_f16 v58, v51, 0x39e0, -v58
	v_fmamk_f16 v45, v45, 0xbcab, v37
	v_fma_f16 v53, v53, 0x3b00, -v60
	v_fma_f16 v49, v51, 0xb9e0, -v49
	v_fma_f16 v51, v55, 0xb574, -v61
	v_fmamk_f16 v55, v55, 0x3574, v60
	v_add_f16_e32 v58, v58, v45
	v_fmac_f16_e32 v53, 0x370e, v50
	v_add_f16_e32 v60, v49, v45
	v_fmac_f16_e32 v51, 0x370e, v50
	;; [unrolled: 2-line block ×3, first 2 shown]
	v_sub_f16_e32 v45, v58, v53
	v_add_f16_e32 v49, v53, v58
	v_add_f16_e32 v52, v51, v60
	v_sub_f16_e32 v50, v60, v51
	v_add_f16_e32 v53, v55, v61
	v_sub_f16_e32 v51, v61, v55
	v_add_f16_e32 v55, v136, v56
	v_add_f16_e32 v65, v141, v142
	v_fmac_f16_e32 v128, v66, v123
	v_sub_f16_e32 v58, v136, v56
	v_add_f16_e32 v56, v77, v57
	v_sub_f16_e32 v60, v77, v57
	v_add_f16_e32 v57, v137, v54
	;; [unrolled: 2-line block ×3, first 2 shown]
	v_sub_f16_e32 v59, v138, v59
	v_sub_f16_e32 v66, v142, v141
	;; [unrolled: 1-line block ×3, first 2 shown]
	v_add_f16_e32 v77, v139, v140
	v_add_f16_e32 v92, v57, v55
	v_sub_f16_e32 v94, v57, v55
	v_sub_f16_e32 v96, v65, v57
	v_add_f16_e32 v57, v61, v56
	v_add_f16_e32 v97, v66, v54
	v_sub_f16_e32 v110, v66, v54
	v_sub_f16_e32 v111, v58, v66
	v_add_f16_e32 v66, v93, v59
	v_mul_f16_e32 v95, 0x3a52, v95
	v_add_f16_e32 v55, v65, v92
	v_sub_f16_e32 v65, v61, v56
	v_sub_f16_e32 v92, v56, v77
	;; [unrolled: 1-line block ×3, first 2 shown]
	v_add_f16_e32 v56, v77, v57
	v_sub_f16_e32 v112, v54, v58
	v_add_f16_e32 v54, v97, v58
	v_sub_f16_e32 v97, v93, v59
	v_sub_f16_e32 v58, v59, v60
	v_mul_f16_e32 v77, 0x2b26, v96
	v_add_f16_e32 v59, v66, v60
	v_fmamk_f16 v66, v96, 0x2b26, v95
	ds_read_u16 v96, v29 offset:196
	v_sub_f16_e32 v57, v60, v93
	v_mul_f16_e32 v60, 0x3a52, v92
	v_mul_f16_e32 v113, 0x2b26, v61
	;; [unrolled: 1-line block ×3, first 2 shown]
	v_add_f16_e32 v27, v27, v55
	v_mul_f16_e32 v97, 0xb846, v97
	v_fma_f16 v77, v94, 0x39e0, -v77
	v_fma_f16 v92, v94, 0xb9e0, -v95
	v_fmamk_f16 v93, v61, 0x2b26, v60
	v_fma_f16 v94, v65, 0x39e0, -v113
	v_fma_f16 v95, v65, 0xb9e0, -v60
	v_mul_f16_e32 v65, 0x3b00, v112
	v_fma_f16 v61, v112, 0x3b00, -v110
	v_fmamk_f16 v55, v55, 0xbcab, v27
	v_fmamk_f16 v60, v111, 0x3574, v110
	v_sub_f16_e32 v110, v91, v127
	v_fma_f16 v65, v111, 0xb574, -v65
	v_fmac_f16_e32 v61, 0x370e, v54
	v_add_f16_e32 v66, v66, v55
	s_waitcnt lgkmcnt(0)
	v_add_f16_e32 v139, v96, v56
	v_mul_f16_e32 v96, 0x3b00, v58
	v_fma_f16 v58, v58, 0x3b00, -v97
	v_fmamk_f16 v97, v57, 0x3574, v97
	v_add_f16_e32 v77, v77, v55
	v_fmamk_f16 v56, v56, 0xbcab, v139
	v_fma_f16 v57, v57, 0xb574, -v96
	v_add_f16_e32 v55, v92, v55
	v_fmac_f16_e32 v60, 0x370e, v54
	v_fmac_f16_e32 v58, 0x370e, v59
	v_add_f16_e32 v92, v93, v56
	v_add_f16_e32 v93, v94, v56
	v_fmac_f16_e32 v57, 0x370e, v59
	v_add_f16_e32 v56, v95, v56
	v_fmac_f16_e32 v65, 0x370e, v54
	v_fmac_f16_e32 v97, 0x370e, v59
	v_add_f16_e32 v140, v61, v93
	v_sub_f16_e32 v141, v93, v61
	v_add_f16_e32 v59, v57, v55
	v_sub_f16_e32 v55, v55, v57
	v_add_f16_e32 v57, v101, v132
	v_add_f16_e32 v61, v99, v130
	v_sub_f16_e32 v142, v56, v65
	v_add_f16_e32 v143, v65, v56
	v_add_f16_e32 v56, v97, v66
	v_sub_f16_e32 v65, v66, v97
	v_sub_f16_e32 v144, v92, v60
	v_add_f16_e32 v145, v60, v92
	v_add_f16_e32 v60, v106, v108
	v_add_f16_e32 v66, v61, v57
	v_sub_f16_e32 v92, v102, v131
	v_sub_f16_e32 v93, v109, v105
	;; [unrolled: 1-line block ×3, first 2 shown]
	v_add_f16_e32 v58, v58, v77
	v_sub_f16_e32 v77, v61, v57
	v_sub_f16_e32 v57, v57, v60
	;; [unrolled: 1-line block ×4, first 2 shown]
	v_add_f16_e32 v60, v60, v66
	v_add_f16_e32 v66, v93, v92
	v_sub_f16_e32 v95, v93, v92
	v_sub_f16_e32 v93, v94, v93
	;; [unrolled: 1-line block ×3, first 2 shown]
	v_add_f16_e32 v3, v3, v60
	v_add_f16_e32 v66, v66, v94
	v_mul_f16_e32 v94, 0x2b26, v61
	v_mul_f16_e32 v95, 0xb846, v95
	;; [unrolled: 1-line block ×4, first 2 shown]
	v_fmamk_f16 v60, v60, 0xbcab, v3
	v_fma_f16 v94, v77, 0x39e0, -v94
	v_fma_f16 v92, v92, 0x3b00, -v95
	v_fmamk_f16 v61, v61, 0x2b26, v57
	v_fma_f16 v57, v77, 0xb9e0, -v57
	v_fma_f16 v77, v93, 0xb574, -v96
	v_fmamk_f16 v93, v93, 0x3574, v95
	v_add_f16_e32 v94, v94, v60
	v_fmac_f16_e32 v92, 0x370e, v66
	v_add_f16_e32 v57, v57, v60
	v_fmac_f16_e32 v77, 0x370e, v66
	v_add_f16_e32 v60, v61, v60
	v_fmac_f16_e32 v93, 0x370e, v66
	v_sub_f16_e32 v61, v94, v92
	v_add_f16_e32 v66, v92, v94
	v_add_f16_e32 v94, v84, v129
	;; [unrolled: 1-line block ×4, first 2 shown]
	v_sub_f16_e32 v57, v57, v77
	v_add_f16_e32 v77, v93, v60
	v_sub_f16_e32 v60, v60, v93
	v_add_f16_e32 v93, v100, v104
	v_add_f16_e32 v96, v95, v94
	v_sub_f16_e32 v111, v107, v87
	v_sub_f16_e32 v97, v95, v94
	;; [unrolled: 1-line block ×5, first 2 shown]
	v_add_f16_e32 v93, v93, v96
	v_add_f16_e32 v96, v111, v110
	v_sub_f16_e32 v113, v111, v110
	v_sub_f16_e32 v111, v112, v111
	;; [unrolled: 1-line block ×3, first 2 shown]
	v_add_f16_e32 v2, v2, v93
	v_add_f16_e32 v96, v96, v112
	v_mul_f16_e32 v112, 0x2b26, v95
	v_mul_f16_e32 v113, 0xb846, v113
	v_mul_f16_e32 v94, 0x3a52, v94
	v_mul_f16_e32 v114, 0x3b00, v110
	v_fmamk_f16 v93, v93, 0xbcab, v2
	v_fma_f16 v112, v97, 0x39e0, -v112
	v_fma_f16 v110, v110, 0x3b00, -v113
	v_fmamk_f16 v95, v95, 0x2b26, v94
	v_fma_f16 v94, v97, 0xb9e0, -v94
	v_fma_f16 v97, v111, 0xb574, -v114
	v_fmamk_f16 v111, v111, 0x3574, v113
	v_add_f16_e32 v112, v112, v93
	v_fmac_f16_e32 v110, 0x370e, v96
	v_add_f16_e32 v94, v94, v93
	v_fmac_f16_e32 v97, 0x370e, v96
	;; [unrolled: 2-line block ×3, first 2 shown]
	v_sub_f16_e32 v95, v112, v110
	v_add_f16_e32 v96, v110, v112
	v_add_f16_e32 v112, v82, v119
	v_add_f16_e32 v113, v81, v116
	v_add_f16_e32 v110, v97, v94
	v_sub_f16_e32 v94, v94, v97
	v_add_f16_e32 v97, v111, v93
	v_sub_f16_e32 v93, v93, v111
	v_add_f16_e32 v111, v85, v88
	v_add_f16_e32 v114, v113, v112
	v_sub_f16_e32 v120, v83, v117
	v_sub_f16_e32 v121, v89, v86
	;; [unrolled: 1-line block ×6, first 2 shown]
	v_add_f16_e32 v111, v111, v114
	v_add_f16_e32 v114, v121, v120
	v_sub_f16_e32 v123, v121, v120
	v_sub_f16_e32 v121, v122, v121
	;; [unrolled: 1-line block ×3, first 2 shown]
	v_add_f16_e32 v1, v1, v111
	v_add_f16_e32 v114, v114, v122
	v_mul_f16_e32 v122, 0x2b26, v113
	v_mul_f16_e32 v123, 0xb846, v123
	;; [unrolled: 1-line block ×4, first 2 shown]
	v_fmamk_f16 v111, v111, 0xbcab, v1
	v_fma_f16 v122, v115, 0x39e0, -v122
	v_fma_f16 v120, v120, 0x3b00, -v123
	v_fmamk_f16 v113, v113, 0x2b26, v112
	v_fma_f16 v112, v115, 0xb9e0, -v112
	v_fma_f16 v115, v121, 0xb574, -v124
	v_fmamk_f16 v121, v121, 0x3574, v123
	v_add_f16_e32 v122, v122, v111
	v_fmac_f16_e32 v120, 0x370e, v114
	v_add_f16_e32 v112, v112, v111
	v_fmac_f16_e32 v115, 0x370e, v114
	;; [unrolled: 2-line block ×3, first 2 shown]
	v_sub_f16_e32 v113, v122, v120
	v_add_f16_e32 v114, v120, v122
	v_add_f16_e32 v122, v26, v75
	;; [unrolled: 1-line block ×4, first 2 shown]
	v_sub_f16_e32 v112, v112, v115
	v_add_f16_e32 v115, v121, v111
	v_sub_f16_e32 v111, v111, v121
	v_add_f16_e32 v121, v24, v64
	v_add_f16_e32 v124, v123, v122
	v_sub_f16_e32 v146, v23, v72
	v_sub_f16_e32 v147, v63, v62
	;; [unrolled: 1-line block ×6, first 2 shown]
	v_add_f16_e32 v121, v121, v124
	v_add_f16_e32 v124, v147, v146
	v_sub_f16_e32 v149, v147, v146
	v_sub_f16_e32 v146, v146, v148
	;; [unrolled: 1-line block ×3, first 2 shown]
	v_mul_f16_e32 v122, 0x3a52, v122
	v_add_f16_e32 v124, v124, v148
	v_mul_f16_e32 v148, 0x2b26, v123
	v_add_f16_e32 v0, v0, v121
	v_mul_f16_e32 v149, 0xb846, v149
	v_mul_f16_e32 v150, 0x3b00, v146
	v_fmamk_f16 v123, v123, 0x2b26, v122
	v_fma_f16 v148, v125, 0x39e0, -v148
	v_fmamk_f16 v121, v121, 0xbcab, v0
	v_fma_f16 v146, v146, 0x3b00, -v149
	v_fma_f16 v122, v125, 0xb9e0, -v122
	;; [unrolled: 1-line block ×3, first 2 shown]
	v_fmamk_f16 v147, v147, 0x3574, v149
	v_add_f16_e32 v148, v148, v121
	v_fmac_f16_e32 v146, 0x370e, v124
	v_add_f16_e32 v122, v122, v121
	v_fmac_f16_e32 v125, 0x370e, v124
	;; [unrolled: 2-line block ×3, first 2 shown]
	v_sub_f16_e32 v123, v148, v146
	v_add_f16_e32 v124, v146, v148
	v_add_f16_e32 v146, v125, v122
	v_sub_f16_e32 v122, v122, v125
	v_add_f16_e32 v125, v147, v121
	v_sub_f16_e32 v121, v121, v147
	v_lshl_add_u32 v147, v32, 1, 0
	v_lshl_add_u32 v148, v34, 1, 0
	ds_read_u16 v136, v29 offset:294
	ds_read_u16 v135, v29 offset:392
	;; [unrolled: 1-line block ×3, first 2 shown]
	ds_read_u16 v138, v29
	ds_read_u16 v137, v29 offset:98
	s_waitcnt lgkmcnt(0)
	s_barrier
	buffer_gl0_inv
	ds_write_b16 v29, v38
	ds_write_b16 v29, v44 offset:98
	ds_write_b16 v29, v41 offset:196
	;; [unrolled: 1-line block ×23, first 2 shown]
	v_lshl_add_u32 v3, v33, 1, 0
	ds_write_b16 v148, v61 offset:2352
	ds_write_b16 v148, v66 offset:2450
	ds_write_b16 v148, v57 offset:2548
	ds_write_b16 v148, v60 offset:2646
	ds_write_b16 v3, v2 offset:2744
	ds_write_b16 v3, v97 offset:2842
	ds_write_b16 v3, v110 offset:2940
	v_lshl_add_u32 v2, v36, 1, 0
	ds_write_b16 v3, v95 offset:3038
	ds_write_b16 v3, v96 offset:3136
	ds_write_b16 v3, v94 offset:3234
	ds_write_b16 v3, v93 offset:3332
	ds_write_b16 v2, v1 offset:3430
	ds_write_b16 v2, v115 offset:3528
	ds_write_b16 v2, v120 offset:3626
	;; [unrolled: 8-line block ×3, first 2 shown]
	ds_write_b16 v1, v123 offset:4410
	ds_write_b16 v1, v124 offset:4508
	ds_write_b16 v1, v122 offset:4606
	ds_write_b16 v1, v121 offset:4704
	v_add_f16_e32 v0, v98, v133
	v_add_f16_e32 v98, v102, v131
	v_sub_f16_e32 v101, v101, v132
	v_add_f16_e32 v102, v105, v109
	v_sub_f16_e32 v99, v99, v130
	v_sub_f16_e32 v106, v108, v106
	v_add_f16_e32 v105, v98, v0
	v_sub_f16_e32 v108, v98, v0
	v_sub_f16_e32 v0, v0, v102
	;; [unrolled: 1-line block ×4, first 2 shown]
	v_add_f16_e32 v102, v102, v105
	v_add_f16_e32 v105, v106, v99
	v_sub_f16_e32 v99, v99, v101
	v_sub_f16_e32 v106, v101, v106
	v_mul_f16_e32 v0, 0x3a52, v0
	v_mul_f16_e32 v130, 0x2b26, v98
	v_add_f16_e32 v101, v105, v101
	v_add_f16_e32 v105, v136, v102
	v_mul_f16_e32 v109, 0xb846, v109
	v_mul_f16_e32 v131, 0x3b00, v99
	v_fmamk_f16 v98, v98, 0x2b26, v0
	v_fma_f16 v130, v108, 0x39e0, -v130
	v_fmamk_f16 v102, v102, 0xbcab, v105
	v_fma_f16 v0, v108, 0xb9e0, -v0
	v_fma_f16 v99, v99, 0x3b00, -v109
	v_fmamk_f16 v108, v106, 0x3574, v109
	v_fma_f16 v106, v106, 0xb574, -v131
	v_add_f16_e32 v109, v130, v102
	v_add_f16_e32 v0, v0, v102
	v_fmac_f16_e32 v99, 0x370e, v101
	v_add_f16_e32 v98, v98, v102
	v_fmac_f16_e32 v106, 0x370e, v101
	v_fmac_f16_e32 v108, 0x370e, v101
	v_add_f16_e32 v90, v90, v128
	v_add_f16_e32 v101, v99, v109
	v_sub_f16_e32 v99, v109, v99
	v_sub_f16_e32 v109, v0, v106
	v_add_f16_e32 v0, v106, v0
	v_add_f16_e32 v91, v91, v127
	v_sub_f16_e32 v102, v98, v108
	s_waitcnt lgkmcnt(0)
	s_barrier
	buffer_gl0_inv
	ds_read_u16 v49, v29 offset:2254
	ds_read_u16 v50, v29 offset:2940
	;; [unrolled: 1-line block ×6, first 2 shown]
	ds_read_u16 v27, v29
	ds_read_u16 v38, v29 offset:98
	ds_read_u16 v45, v29 offset:196
	;; [unrolled: 1-line block ×42, first 2 shown]
	s_waitcnt lgkmcnt(0)
	s_barrier
	buffer_gl0_inv
	ds_write_b16 v147, v139 offset:1372
	ds_write_b16 v147, v144 offset:1470
	;; [unrolled: 1-line block ×13, first 2 shown]
	v_sub_f16_e32 v0, v84, v129
	v_add_f16_e32 v84, v87, v107
	v_sub_f16_e32 v87, v103, v126
	v_add_f16_e32 v99, v91, v90
	v_sub_f16_e32 v100, v104, v100
	v_sub_f16_e32 v101, v91, v90
	;; [unrolled: 1-line block ×4, first 2 shown]
	v_add_f16_e32 v84, v84, v99
	v_add_f16_e32 v99, v100, v87
	v_sub_f16_e32 v102, v100, v87
	v_sub_f16_e32 v87, v87, v0
	;; [unrolled: 1-line block ×3, first 2 shown]
	v_mul_f16_e32 v90, 0x3a52, v90
	v_mul_f16_e32 v103, 0x2b26, v91
	v_add_f16_e32 v0, v99, v0
	v_add_f16_e32 v99, v135, v84
	v_mul_f16_e32 v102, 0xb846, v102
	v_mul_f16_e32 v104, 0x3b00, v87
	v_fmamk_f16 v91, v91, 0x2b26, v90
	v_fma_f16 v103, v101, 0x39e0, -v103
	v_fmamk_f16 v84, v84, 0xbcab, v99
	v_fma_f16 v90, v101, 0xb9e0, -v90
	;; [unrolled: 2-line block ×3, first 2 shown]
	v_fma_f16 v87, v87, 0x3b00, -v102
	v_add_f16_e32 v91, v91, v84
	v_add_f16_e32 v98, v108, v98
	v_fmac_f16_e32 v101, 0x370e, v0
	v_add_f16_e32 v102, v103, v84
	v_add_f16_e32 v84, v90, v84
	v_fmac_f16_e32 v100, 0x370e, v0
	v_fmac_f16_e32 v87, 0x370e, v0
	v_sub_f16_e32 v90, v91, v101
	ds_write_b16 v148, v98 offset:2646
	v_sub_f16_e32 v81, v81, v116
	v_sub_f16_e32 v98, v84, v100
	v_add_f16_e32 v0, v87, v102
	v_sub_f16_e32 v87, v102, v87
	v_add_f16_e32 v84, v100, v84
	ds_write_b16 v3, v99 offset:2744
	ds_write_b16 v3, v90 offset:2842
	ds_write_b16 v3, v98 offset:2940
	ds_write_b16 v3, v0 offset:3038
	ds_write_b16 v3, v87 offset:3136
	v_add_f16_e32 v0, v80, v118
	v_add_f16_e32 v80, v83, v117
	;; [unrolled: 1-line block ×3, first 2 shown]
	ds_write_b16 v3, v84 offset:3234
	v_sub_f16_e32 v85, v88, v85
	v_sub_f16_e32 v82, v82, v119
	v_add_f16_e32 v84, v80, v0
	v_sub_f16_e32 v86, v80, v0
	v_sub_f16_e32 v0, v0, v83
	;; [unrolled: 1-line block ×4, first 2 shown]
	v_add_f16_e32 v83, v83, v84
	v_add_f16_e32 v84, v85, v81
	v_sub_f16_e32 v81, v81, v82
	v_sub_f16_e32 v85, v82, v85
	v_mul_f16_e32 v0, 0x3a52, v0
	v_mul_f16_e32 v88, 0x2b26, v80
	v_add_f16_e32 v82, v84, v82
	v_add_f16_e32 v84, v134, v83
	v_mul_f16_e32 v87, 0xb846, v87
	v_mul_f16_e32 v89, 0x3b00, v81
	v_fmamk_f16 v80, v80, 0x2b26, v0
	v_fma_f16 v88, v86, 0x39e0, -v88
	v_fmamk_f16 v83, v83, 0xbcab, v84
	v_fma_f16 v0, v86, 0xb9e0, -v0
	;; [unrolled: 2-line block ×3, first 2 shown]
	v_fma_f16 v81, v81, 0x3b00, -v87
	v_add_f16_e32 v80, v80, v83
	v_add_f16_e32 v0, v0, v83
	v_fmac_f16_e32 v86, 0x370e, v82
	v_fmac_f16_e32 v85, 0x370e, v82
	v_add_f16_e32 v91, v101, v91
	v_add_f16_e32 v87, v88, v83
	v_fmac_f16_e32 v81, 0x370e, v82
	v_sub_f16_e32 v82, v80, v86
	v_sub_f16_e32 v83, v0, v85
	ds_write_b16 v3, v91 offset:3332
	v_add_f16_e32 v0, v85, v0
	v_add_f16_e32 v3, v81, v87
	v_sub_f16_e32 v81, v87, v81
	v_add_f16_e32 v80, v86, v80
	ds_write_b16 v2, v84 offset:3430
	ds_write_b16 v2, v82 offset:3528
	;; [unrolled: 1-line block ×6, first 2 shown]
	v_add_f16_e32 v0, v14, v78
	v_add_f16_e32 v3, v16, v74
	v_sub_f16_e32 v14, v19, v76
	ds_write_b16 v2, v80 offset:4018
	v_sub_f16_e32 v2, v13, v79
	v_add_f16_e32 v13, v18, v20
	v_add_f16_e32 v16, v3, v0
	v_sub_f16_e32 v17, v21, v17
	v_sub_f16_e32 v18, v3, v0
	v_add_f16_e32 v5, v5, v69
	v_sub_f16_e32 v0, v0, v13
	v_sub_f16_e32 v3, v13, v3
	v_add_f16_e32 v13, v13, v16
	v_add_f16_e32 v16, v17, v14
	v_sub_f16_e32 v19, v17, v14
	v_sub_f16_e32 v14, v14, v2
	;; [unrolled: 1-line block ×3, first 2 shown]
	v_mul_f16_e32 v0, 0x3a52, v0
	v_add_f16_e32 v2, v16, v2
	v_mul_f16_e32 v16, 0x2b26, v3
	v_add_f16_e32 v20, v138, v13
	v_mul_f16_e32 v19, 0xb846, v19
	v_mul_f16_e32 v21, 0x3b00, v14
	v_fmamk_f16 v3, v3, 0x2b26, v0
	v_fma_f16 v16, v18, 0x39e0, -v16
	v_fmamk_f16 v13, v13, 0xbcab, v20
	v_fma_f16 v14, v14, 0x3b00, -v19
	v_fma_f16 v0, v18, 0xb9e0, -v0
	v_fma_f16 v18, v17, 0xb574, -v21
	v_fmamk_f16 v17, v17, 0x3574, v19
	v_add_f16_e32 v10, v10, v68
	v_add_f16_e32 v16, v16, v13
	v_fmac_f16_e32 v14, 0x370e, v2
	v_add_f16_e32 v3, v3, v13
	v_fmac_f16_e32 v17, 0x370e, v2
	v_sub_f16_e32 v6, v6, v70
	v_add_f16_e32 v9, v9, v11
	v_sub_f16_e32 v7, v7, v67
	v_add_f16_e32 v11, v10, v5
	;; [unrolled: 2-line block ×3, first 2 shown]
	v_fmac_f16_e32 v18, 0x370e, v2
	v_add_f16_e32 v2, v14, v16
	v_sub_f16_e32 v13, v16, v14
	v_sub_f16_e32 v16, v3, v17
	v_add_f16_e32 v3, v17, v3
	v_sub_f16_e32 v15, v10, v5
	v_sub_f16_e32 v5, v5, v9
	;; [unrolled: 1-line block ×3, first 2 shown]
	v_add_f16_e32 v9, v9, v11
	v_add_f16_e32 v11, v8, v7
	v_sub_f16_e32 v17, v8, v7
	v_sub_f16_e32 v7, v7, v6
	;; [unrolled: 1-line block ×3, first 2 shown]
	v_add_f16_e32 v0, v18, v0
	v_sub_f16_e32 v8, v6, v8
	v_mul_f16_e32 v5, 0x3a52, v5
	v_add_f16_e32 v6, v11, v6
	v_mul_f16_e32 v11, 0x2b26, v10
	v_add_f16_e32 v18, v137, v9
	v_mul_f16_e32 v19, 0x3b00, v7
	v_mul_f16_e32 v17, 0xb846, v17
	v_fmamk_f16 v10, v10, 0x2b26, v5
	v_fma_f16 v11, v15, 0x39e0, -v11
	v_fmamk_f16 v9, v9, 0xbcab, v18
	v_fma_f16 v5, v15, 0xb9e0, -v5
	v_fma_f16 v15, v8, 0xb574, -v19
	v_fma_f16 v7, v7, 0x3b00, -v17
	v_fmamk_f16 v8, v8, 0x3574, v17
	v_add_f16_e32 v11, v11, v9
	v_add_f16_e32 v5, v5, v9
	v_fmac_f16_e32 v15, 0x370e, v6
	v_fmac_f16_e32 v7, 0x370e, v6
	v_add_f16_e32 v9, v10, v9
	v_fmac_f16_e32 v8, 0x370e, v6
	v_add_f16_e32 v17, v23, v72
	v_sub_f16_e32 v10, v5, v15
	v_add_f16_e32 v5, v15, v5
	v_add_f16_e32 v15, v22, v73
	;; [unrolled: 1-line block ×3, first 2 shown]
	v_sub_f16_e32 v7, v11, v7
	v_sub_f16_e32 v11, v9, v8
	v_add_f16_e32 v8, v8, v9
	v_sub_f16_e32 v9, v26, v75
	v_add_f16_e32 v19, v62, v63
	;; [unrolled: 2-line block ×3, first 2 shown]
	v_sub_f16_e32 v23, v64, v24
	v_sub_f16_e32 v24, v17, v15
	;; [unrolled: 1-line block ×4, first 2 shown]
	v_add_f16_e32 v19, v19, v22
	v_add_f16_e32 v22, v23, v21
	v_sub_f16_e32 v25, v23, v21
	v_sub_f16_e32 v21, v21, v9
	;; [unrolled: 1-line block ×3, first 2 shown]
	v_mul_f16_e32 v15, 0x3a52, v15
	v_add_f16_e32 v9, v22, v9
	v_mul_f16_e32 v22, 0x2b26, v17
	v_add_f16_e32 v4, v4, v19
	v_mul_f16_e32 v25, 0xb846, v25
	v_mul_f16_e32 v26, 0x3b00, v21
	v_fmamk_f16 v17, v17, 0x2b26, v15
	v_fma_f16 v22, v24, 0x39e0, -v22
	v_fmamk_f16 v19, v19, 0xbcab, v4
	v_fma_f16 v21, v21, 0x3b00, -v25
	v_fma_f16 v15, v24, 0xb9e0, -v15
	v_fma_f16 v24, v23, 0xb574, -v26
	v_fmamk_f16 v23, v23, 0x3574, v25
	v_add_f16_e32 v22, v22, v19
	v_fmac_f16_e32 v21, 0x370e, v9
	v_add_f16_e32 v15, v15, v19
	v_fmac_f16_e32 v24, 0x370e, v9
	;; [unrolled: 2-line block ×3, first 2 shown]
	v_add_f16_e32 v9, v21, v22
	v_sub_f16_e32 v19, v22, v21
	v_sub_f16_e32 v21, v15, v24
	v_add_f16_e32 v15, v24, v15
	v_sub_f16_e32 v22, v17, v23
	v_add_f16_e32 v17, v23, v17
	ds_write_b16 v29, v20
	ds_write_b16 v29, v16 offset:98
	ds_write_b16 v29, v14 offset:196
	;; [unrolled: 1-line block ×20, first 2 shown]
	s_waitcnt lgkmcnt(0)
	s_barrier
	buffer_gl0_inv
	s_and_saveexec_b32 s0, vcc_lo
	s_cbranch_execz .LBB0_13
; %bb.12:
	v_mul_u32_u24_e32 v0, 6, v48
	v_mad_u32_u24 v15, v48, 6, 0xfffffeda
	v_mov_b32_e32 v16, 0
	v_add_co_u32 v17, s0, s8, v12
	v_lshlrev_b32_e32 v4, 2, v0
	v_add_co_ci_u32_e64 v18, null, s9, 0, s0
	s_clause 0x1
	global_load_dwordx4 v[0:3], v4, s[8:9] offset:1344
	global_load_dwordx2 v[19:20], v4, s[8:9] offset:1360
	v_lshlrev_b64 v[4:5], 2, v[15:16]
	v_mad_u32_u24 v15, v48, 6, 0xfffffdb4
	v_add_co_u32 v8, vcc_lo, s8, v4
	v_add_co_ci_u32_e32 v9, vcc_lo, s9, v5, vcc_lo
	s_clause 0x1
	global_load_dwordx4 v[4:7], v[8:9], off offset:1344
	global_load_dwordx2 v[21:22], v[8:9], off offset:1360
	v_lshlrev_b64 v[8:9], 2, v[15:16]
	v_mad_u32_u24 v15, v48, 6, 0xfffffc8e
	v_add_co_u32 v13, vcc_lo, s8, v8
	v_add_co_ci_u32_e32 v14, vcc_lo, s9, v9, vcc_lo
	s_clause 0x1
	global_load_dwordx4 v[8:11], v[13:14], off offset:1344
	global_load_dwordx2 v[23:24], v[13:14], off offset:1360
	v_lshlrev_b64 v[12:13], 2, v[15:16]
	v_mad_u32_u24 v15, v48, 6, 0xfffffb68
	ds_read_u16 v67, v29 offset:1274
	ds_read_u16 v68, v29 offset:4704
	;; [unrolled: 1-line block ×40, first 2 shown]
	v_lshlrev_b64 v[25:26], 2, v[15:16]
	v_mad_u32_u24 v15, v48, 6, 0xfffffa42
	v_add_co_u32 v12, vcc_lo, s8, v12
	v_add_co_ci_u32_e32 v13, vcc_lo, s9, v13, vcc_lo
	v_lshlrev_b64 v[14:15], 2, v[15:16]
	v_add_co_u32 v25, vcc_lo, s8, v25
	v_add_co_ci_u32_e32 v26, vcc_lo, s9, v26, vcc_lo
	v_add_co_u32 v69, vcc_lo, s8, v14
	v_add_co_ci_u32_e32 v70, vcc_lo, s9, v15, vcc_lo
	s_clause 0x5
	global_load_dwordx4 v[102:105], v[12:13], off offset:1344
	global_load_dwordx2 v[116:117], v[12:13], off offset:1360
	global_load_dwordx4 v[106:109], v[25:26], off offset:1344
	global_load_dwordx2 v[118:119], v[25:26], off offset:1360
	;; [unrolled: 2-line block ×3, first 2 shown]
	ds_read_u16 v142, v29 offset:1176
	ds_read_u16 v149, v29 offset:1078
	s_waitcnt vmcnt(11)
	v_lshrrev_b32_e32 v69, 16, v0
	v_lshrrev_b32_e32 v70, 16, v1
	;; [unrolled: 1-line block ×4, first 2 shown]
	s_waitcnt vmcnt(10)
	v_lshrrev_b32_e32 v139, 16, v19
	v_lshrrev_b32_e32 v140, 16, v20
	s_waitcnt lgkmcnt(40)
	v_mul_f16_e32 v141, v20, v68
	v_mul_f16_e32 v143, v0, v67
	s_waitcnt lgkmcnt(19)
	v_mul_f16_e32 v144, v2, v86
	v_mul_f16_e32 v145, v3, v83
	;; [unrolled: 1-line block ×3, first 2 shown]
	s_waitcnt lgkmcnt(12)
	v_mul_f16_e32 v147, v1, v89
	v_mul_f16_e32 v67, v69, v67
	;; [unrolled: 1-line block ×7, first 2 shown]
	v_fmac_f16_e32 v141, v125, v140
	v_fmac_f16_e32 v143, v121, v69
	;; [unrolled: 1-line block ×6, first 2 shown]
	s_waitcnt vmcnt(9)
	v_lshrrev_b32_e32 v69, 16, v4
	v_lshrrev_b32_e32 v70, 16, v5
	;; [unrolled: 1-line block ×4, first 2 shown]
	s_waitcnt vmcnt(8)
	v_lshrrev_b32_e32 v139, 16, v21
	v_lshrrev_b32_e32 v140, 16, v22
	v_mul_f16_e32 v148, v22, v64
	s_waitcnt lgkmcnt(1)
	v_mul_f16_e32 v150, v4, v142
	v_mul_f16_e32 v151, v6, v87
	;; [unrolled: 1-line block ×5, first 2 shown]
	v_fma_f16 v0, v121, v0, -v67
	v_fma_f16 v20, v125, v20, -v68
	;; [unrolled: 1-line block ×6, first 2 shown]
	v_add_f16_e32 v67, v143, v141
	v_add_f16_e32 v68, v145, v144
	;; [unrolled: 1-line block ×3, first 2 shown]
	v_sub_f16_e32 v83, v143, v141
	v_sub_f16_e32 v86, v145, v144
	;; [unrolled: 1-line block ×3, first 2 shown]
	v_mul_f16_e32 v120, v69, v142
	v_mul_f16_e32 v64, v140, v64
	;; [unrolled: 1-line block ×6, first 2 shown]
	v_fmac_f16_e32 v148, v115, v140
	v_fmac_f16_e32 v150, v110, v69
	;; [unrolled: 1-line block ×3, first 2 shown]
	ds_read_u16 v137, v29 offset:980
	v_fmac_f16_e32 v152, v114, v138
	v_fmac_f16_e32 v153, v113, v139
	;; [unrolled: 1-line block ×3, first 2 shown]
	s_waitcnt vmcnt(7)
	v_lshrrev_b32_e32 v69, 16, v8
	v_lshrrev_b32_e32 v70, 16, v9
	;; [unrolled: 1-line block ×4, first 2 shown]
	s_waitcnt vmcnt(6)
	v_lshrrev_b32_e32 v124, 16, v23
	v_lshrrev_b32_e32 v125, 16, v24
	v_mul_f16_e32 v130, v24, v63
	s_waitcnt lgkmcnt(1)
	v_mul_f16_e32 v138, v8, v149
	v_mul_f16_e32 v139, v10, v88
	;; [unrolled: 1-line block ×5, first 2 shown]
	v_sub_f16_e32 v143, v0, v20
	v_sub_f16_e32 v144, v3, v2
	;; [unrolled: 1-line block ×5, first 2 shown]
	v_add_f16_e32 v155, v67, v71
	v_add_f16_e32 v0, v0, v20
	v_add_f16_e32 v2, v3, v2
	v_add_f16_e32 v1, v1, v19
	v_sub_f16_e32 v19, v86, v89
	v_add_f16_e32 v20, v86, v89
	v_sub_f16_e32 v67, v71, v67
	v_sub_f16_e32 v71, v89, v83
	v_fma_f16 v4, v110, v4, -v120
	v_fma_f16 v22, v115, v22, -v64
	;; [unrolled: 1-line block ×6, first 2 shown]
	v_sub_f16_e32 v3, v83, v86
	v_add_f16_e32 v64, v150, v148
	v_add_f16_e32 v73, v152, v151
	;; [unrolled: 1-line block ×3, first 2 shown]
	v_sub_f16_e32 v86, v150, v148
	v_sub_f16_e32 v87, v152, v151
	;; [unrolled: 1-line block ×3, first 2 shown]
	v_mul_f16_e32 v110, v69, v149
	v_mul_f16_e32 v63, v125, v63
	;; [unrolled: 1-line block ×6, first 2 shown]
	v_fmac_f16_e32 v130, v97, v125
	v_fmac_f16_e32 v138, v93, v69
	;; [unrolled: 1-line block ×6, first 2 shown]
	v_sub_f16_e32 v70, v144, v145
	v_add_f16_e32 v112, v144, v145
	v_mul_f16_e32 v113, 0x3a52, v146
	v_mul_f16_e32 v114, 0x2b26, v147
	v_add_f16_e32 v68, v68, v155
	v_sub_f16_e32 v120, v2, v1
	v_add_f16_e32 v121, v0, v1
	v_mul_f16_e32 v19, 0xb846, v19
	v_add_f16_e32 v20, v83, v20
	v_sub_f16_e32 v83, v145, v143
	v_sub_f16_e32 v122, v1, v0
	v_mul_f16_e32 v1, 0x3b00, v71
	v_sub_f16_e32 v123, v4, v22
	v_sub_f16_e32 v124, v7, v6
	;; [unrolled: 1-line block ×3, first 2 shown]
	v_add_f16_e32 v4, v4, v22
	v_add_f16_e32 v5, v5, v21
	v_sub_f16_e32 v69, v143, v144
	v_sub_f16_e32 v115, v0, v2
	;; [unrolled: 1-line block ×4, first 2 shown]
	v_add_f16_e32 v145, v64, v84
	v_add_f16_e32 v6, v7, v6
	v_sub_f16_e32 v7, v86, v87
	v_sub_f16_e32 v21, v87, v89
	v_add_f16_e32 v22, v87, v89
	v_sub_f16_e32 v64, v84, v64
	v_sub_f16_e32 v84, v89, v86
	v_fma_f16 v8, v93, v8, -v110
	v_fma_f16 v24, v97, v24, -v63
	;; [unrolled: 1-line block ×6, first 2 shown]
	v_add_f16_e32 v85, v138, v130
	v_add_f16_e32 v87, v142, v141
	v_mul_f16_e32 v70, 0xb846, v70
	v_add_f16_e32 v82, v143, v112
	v_add_f16_e32 v0, v133, v68
	v_fmamk_f16 v96, v3, 0x3574, v19
	v_mul_f16_e32 v97, 0x3b00, v83
	v_fma_f16 v110, v67, 0xb9e0, -v113
	v_fma_f16 v111, v3, 0xb574, -v1
	;; [unrolled: 1-line block ×4, first 2 shown]
	v_sub_f16_e32 v67, v123, v124
	v_sub_f16_e32 v71, v124, v125
	v_add_f16_e32 v112, v124, v125
	v_add_f16_e32 v124, v4, v5
	;; [unrolled: 1-line block ×3, first 2 shown]
	v_sub_f16_e32 v88, v138, v130
	v_sub_f16_e32 v89, v140, v139
	;; [unrolled: 1-line block ×3, first 2 shown]
	v_fmamk_f16 v93, v146, 0x3a52, v114
	v_mul_f16_e32 v94, 0x3a52, v115
	v_mul_f16_e32 v95, 0x2b26, v120
	v_add_f16_e32 v2, v2, v121
	v_mul_f16_e32 v113, 0x3a52, v131
	v_mul_f16_e32 v114, 0x2b26, v144
	v_add_f16_e32 v73, v73, v145
	v_sub_f16_e32 v120, v4, v6
	v_sub_f16_e32 v121, v6, v5
	v_mul_f16_e32 v21, 0xb846, v21
	v_add_f16_e32 v22, v86, v22
	v_sub_f16_e32 v86, v125, v123
	v_sub_f16_e32 v4, v5, v4
	v_mul_f16_e32 v5, 0x3b00, v84
	v_sub_f16_e32 v125, v8, v24
	v_sub_f16_e32 v130, v11, v10
	;; [unrolled: 1-line block ×3, first 2 shown]
	v_add_f16_e32 v140, v85, v87
	v_add_f16_e32 v141, v8, v24
	;; [unrolled: 1-line block ×4, first 2 shown]
	v_fmamk_f16 v10, v69, 0x3574, v70
	v_fmamk_f16 v11, v68, 0xbcab, v0
	v_fma_f16 v68, v69, 0xb574, -v97
	v_fma_f16 v70, v83, 0x3b00, -v70
	v_add_f16_e32 v83, v123, v112
	v_add_f16_e32 v112, v6, v124
	v_sub_f16_e32 v138, v85, v63
	v_sub_f16_e32 v139, v63, v87
	;; [unrolled: 1-line block ×3, first 2 shown]
	v_fmamk_f16 v23, v115, 0x3a52, v95
	v_add_f16_e32 v1, v77, v2
	v_fmac_f16_e32 v96, 0x370e, v20
	v_fma_f16 v69, v122, 0xb9e0, -v94
	v_fmac_f16_e32 v111, 0x370e, v20
	v_fmac_f16_e32 v19, 0x370e, v20
	v_mul_f16_e32 v71, 0xb846, v71
	v_fmamk_f16 v94, v131, 0x3a52, v114
	v_add_f16_e32 v20, v134, v73
	v_mul_f16_e32 v97, 0x2b26, v121
	v_fmamk_f16 v115, v7, 0x3574, v21
	v_mul_f16_e32 v6, 0x3b00, v86
	v_fma_f16 v113, v64, 0xb9e0, -v113
	v_fma_f16 v121, v7, 0xb574, -v5
	v_fma_f16 v5, v64, 0x39e0, -v114
	v_fma_f16 v84, v84, 0x3b00, -v21
	v_sub_f16_e32 v114, v125, v130
	v_sub_f16_e32 v7, v130, v133
	v_add_f16_e32 v21, v130, v133
	v_add_f16_e32 v63, v63, v140
	v_sub_f16_e32 v64, v8, v142
	v_add_f16_e32 v130, v141, v142
	v_fmac_f16_e32 v68, 0x370e, v82
	v_add_f16_e32 v110, v110, v11
	v_add_f16_e32 v24, v66, v112
	v_fma_f16 v77, v122, 0x39e0, -v95
	v_mul_f16_e32 v95, 0x3a52, v120
	v_sub_f16_e32 v124, v141, v8
	v_mul_f16_e32 v131, 0xb846, v9
	v_fmac_f16_e32 v10, 0x370e, v82
	v_add_f16_e32 v9, v93, v11
	v_fmamk_f16 v93, v2, 0xbcab, v1
	v_add_f16_e32 v11, v3, v11
	v_fmac_f16_e32 v70, 0x370e, v82
	v_fmamk_f16 v134, v67, 0x3574, v71
	v_fmamk_f16 v73, v73, 0xbcab, v20
	v_fma_f16 v66, v67, 0xb574, -v6
	v_fma_f16 v71, v86, 0x3b00, -v71
	;; [unrolled: 1-line block ×3, first 2 shown]
	v_add_f16_e32 v82, v135, v63
	v_mul_f16_e32 v135, 0x2b26, v64
	v_add_f16_e32 v64, v8, v130
	v_add_f16_e32 v3, v68, v110
	v_sub_f16_e32 v8, v110, v68
	v_fmamk_f16 v68, v112, 0xbcab, v24
	v_fmamk_f16 v120, v120, 0x3a52, v97
	v_fmac_f16_e32 v115, 0x370e, v22
	v_fma_f16 v67, v4, 0xb9e0, -v95
	v_fmac_f16_e32 v121, 0x370e, v22
	v_fmac_f16_e32 v84, 0x370e, v22
	v_add_f16_e32 v97, v125, v21
	v_add_f16_e32 v21, v23, v93
	;; [unrolled: 1-line block ×3, first 2 shown]
	v_sub_f16_e32 v4, v11, v70
	v_add_f16_e32 v23, v77, v93
	v_add_f16_e32 v6, v70, v11
	v_fmac_f16_e32 v134, 0x370e, v83
	v_fmac_f16_e32 v66, 0x370e, v83
	v_add_f16_e32 v70, v113, v73
	v_fmac_f16_e32 v71, 0x370e, v83
	v_add_f16_e32 v83, v65, v64
	v_add_f16_e32 v86, v86, v68
	v_mul_f16_e32 v95, 0xb846, v7
	v_add_f16_e32 v2, v10, v9
	v_sub_f16_e32 v10, v9, v10
	v_add_f16_e32 v69, v94, v73
	v_add_f16_e32 v73, v5, v73
	v_fmamk_f16 v110, v124, 0x3a52, v135
	v_sub_f16_e32 v5, v21, v96
	v_sub_f16_e32 v7, v22, v111
	v_add_f16_e32 v9, v19, v23
	v_sub_f16_e32 v11, v23, v19
	v_add_f16_e32 v19, v111, v22
	v_add_f16_e32 v21, v96, v21
	;; [unrolled: 1-line block ×5, first 2 shown]
	v_sub_f16_e32 v68, v70, v66
	v_fmamk_f16 v111, v64, 0xbcab, v83
	v_add_f16_e32 v66, v84, v86
	v_sub_f16_e32 v70, v86, v84
	v_sub_f16_e32 v84, v133, v125
	;; [unrolled: 1-line block ×3, first 2 shown]
	v_mul_f16_e32 v122, 0x3a52, v138
	v_mul_f16_e32 v123, 0x2b26, v139
	v_fmamk_f16 v94, v63, 0xbcab, v82
	v_sub_f16_e32 v63, v73, v71
	v_add_f16_e32 v67, v71, v73
	v_sub_f16_e32 v65, v96, v121
	v_add_f16_e32 v71, v121, v96
	v_add_f16_e32 v96, v110, v111
	;; [unrolled: 1-line block ×3, first 2 shown]
	v_mul_f16_e32 v110, 0x3b00, v84
	v_sub_f16_e32 v85, v87, v85
	v_fmamk_f16 v138, v138, 0x3a52, v123
	v_add_f16_e32 v22, v134, v69
	v_sub_f16_e32 v69, v69, v134
	v_mul_f16_e32 v86, 0x3a52, v124
	v_sub_f16_e32 v87, v142, v141
	v_sub_f16_e32 v92, v92, v88
	v_add_f16_e32 v88, v88, v89
	v_fma_f16 v89, v114, 0xb574, -v110
	v_fma_f16 v110, v85, 0xb9e0, -v122
	;; [unrolled: 1-line block ×3, first 2 shown]
	s_waitcnt vmcnt(5)
	v_lshrrev_b32_e32 v123, 16, v102
	s_waitcnt vmcnt(4)
	v_lshrrev_b32_e32 v133, 16, v117
	v_lshrrev_b32_e32 v134, 16, v105
	v_fmamk_f16 v93, v114, 0x3574, v95
	v_sub_f16_e32 v64, v77, v115
	v_add_f16_e32 v73, v115, v77
	v_fma_f16 v86, v87, 0xb9e0, -v86
	v_mul_f16_e32 v112, 0x3b00, v92
	v_add_f16_e32 v122, v110, v94
	v_fma_f16 v95, v84, 0x3b00, -v95
	v_fma_f16 v84, v87, 0x39e0, -v135
	ds_read_u16 v135, v29 offset:882
	s_waitcnt lgkmcnt(1)
	v_mul_f16_e32 v114, v123, v137
	v_mul_f16_e32 v115, v133, v62
	;; [unrolled: 1-line block ×3, first 2 shown]
	v_fmac_f16_e32 v93, 0x370e, v97
	v_fmamk_f16 v121, v143, 0x3574, v131
	v_fmac_f16_e32 v89, 0x370e, v97
	v_add_f16_e32 v124, v86, v111
	v_fma_f16 v125, v143, 0xb574, -v112
	v_fmac_f16_e32 v95, 0x370e, v97
	v_add_f16_e32 v97, v84, v111
	v_fma_f16 v143, v56, v105, -v110
	global_load_dwordx4 v[110:113], v[17:18], off offset:1344
	v_fma_f16 v144, v58, v102, -v114
	v_fma_f16 v145, v61, v117, -v115
	global_load_dwordx2 v[114:115], v[17:18], off offset:1360
	v_add_f16_e32 v120, v138, v94
	v_add_f16_e32 v94, v85, v94
	v_lshrrev_b32_e32 v130, 16, v103
	v_fma_f16 v92, v92, 0x3b00, -v131
	v_lshrrev_b32_e32 v131, 16, v104
	v_lshrrev_b32_e32 v138, 16, v116
	v_sub_f16_e32 v87, v94, v95
	v_mul_f16_e32 v141, v130, v132
	v_add_f16_e32 v17, v95, v94
	v_mul_f16_e32 v95, v117, v62
	v_mul_f16_e32 v139, v131, v128
	;; [unrolled: 1-line block ×3, first 2 shown]
	v_fma_f16 v141, v59, v103, -v141
	v_mul_f16_e32 v102, v102, v137
	v_fmac_f16_e32 v95, v61, v133
	v_mul_f16_e32 v61, v116, v126
	v_mul_f16_e32 v103, v103, v132
	v_fma_f16 v139, v60, v104, -v139
	v_fma_f16 v142, v57, v116, -v142
	v_fmac_f16_e32 v102, v58, v123
	v_mul_f16_e32 v104, v104, v128
	v_mul_f16_e32 v105, v105, v127
	v_fmac_f16_e32 v61, v57, v138
	v_fmac_f16_e32 v103, v59, v130
	;; [unrolled: 1-line block ×3, first 2 shown]
	v_sub_f16_e32 v146, v143, v139
	v_sub_f16_e32 v147, v141, v142
	v_fmac_f16_e32 v104, v60, v131
	v_fmac_f16_e32 v105, v56, v134
	v_add_f16_e32 v60, v102, v95
	v_add_f16_e32 v116, v103, v61
	v_fmac_f16_e32 v121, 0x370e, v88
	v_fmac_f16_e32 v125, 0x370e, v88
	v_add_f16_e32 v88, v92, v97
	v_sub_f16_e32 v18, v97, v92
	v_sub_f16_e32 v92, v144, v145
	v_add_f16_e32 v57, v146, v147
	v_add_f16_e32 v58, v105, v104
	;; [unrolled: 1-line block ×4, first 2 shown]
	v_sub_f16_e32 v84, v96, v121
	v_add_f16_e32 v85, v89, v122
	v_sub_f16_e32 v89, v122, v89
	v_add_f16_e32 v122, v92, v57
	;; [unrolled: 2-line block ×3, first 2 shown]
	v_add_f16_e32 v59, v58, v59
	v_add_f16_e32 v120, v144, v145
	;; [unrolled: 1-line block ×3, first 2 shown]
	v_sub_f16_e32 v86, v124, v125
	v_add_f16_e32 v62, v125, v124
	v_sub_f16_e32 v93, v58, v116
	v_sub_f16_e32 v96, v60, v58
	v_add_f16_e32 v58, v136, v59
	v_add_f16_e32 v124, v143, v139
	;; [unrolled: 1-line block ×3, first 2 shown]
	v_mul_f16_e32 v93, 0x2b26, v93
	v_mul_f16_e32 v126, 0x3a52, v96
	v_fmamk_f16 v127, v59, 0xbcab, v58
	v_sub_f16_e32 v59, v124, v121
	v_add_f16_e32 v125, v124, v125
	v_fmamk_f16 v96, v96, 0x3a52, v93
	v_sub_f16_e32 v104, v105, v104
	v_sub_f16_e32 v61, v103, v61
	;; [unrolled: 1-line block ×3, first 2 shown]
	v_mul_f16_e32 v105, 0x2b26, v59
	v_add_f16_e32 v59, v55, v125
	v_sub_f16_e32 v95, v102, v95
	v_add_f16_e32 v102, v96, v127
	v_sub_f16_e32 v94, v146, v147
	v_fmamk_f16 v96, v103, 0x3a52, v105
	v_fmamk_f16 v124, v125, 0xbcab, v59
	v_sub_f16_e32 v97, v92, v146
	v_sub_f16_e32 v55, v104, v61
	v_sub_f16_e32 v92, v147, v92
	v_sub_f16_e32 v60, v116, v60
	v_add_f16_e32 v130, v96, v124
	v_add_f16_e32 v96, v104, v61
	v_mul_f16_e32 v94, 0xb846, v94
	v_sub_f16_e32 v125, v95, v104
	v_mul_f16_e32 v128, 0xb846, v55
	v_mul_f16_e32 v104, 0x3b00, v92
	v_sub_f16_e32 v116, v121, v120
	v_sub_f16_e32 v61, v61, v95
	v_add_f16_e32 v95, v95, v96
	v_fma_f16 v96, v60, 0xb9e0, -v126
	ds_read_u16 v140, v29 offset:1568
	v_fmamk_f16 v117, v97, 0x3574, v94
	v_mul_f16_e32 v103, 0x3a52, v103
	v_fma_f16 v97, v97, 0xb574, -v104
	v_mul_f16_e32 v104, 0x3b00, v61
	v_add_f16_e32 v120, v96, v127
	v_fma_f16 v60, v60, 0x39e0, -v93
	v_fma_f16 v96, v92, 0x3b00, -v94
	;; [unrolled: 1-line block ×4, first 2 shown]
	v_fmac_f16_e32 v117, 0x370e, v122
	v_fmamk_f16 v131, v125, 0x3574, v128
	v_fma_f16 v103, v116, 0xb9e0, -v103
	v_fmac_f16_e32 v97, 0x370e, v122
	v_fma_f16 v104, v125, 0xb574, -v104
	v_add_f16_e32 v105, v60, v127
	v_fmac_f16_e32 v96, 0x370e, v122
	v_fmac_f16_e32 v121, 0x370e, v95
	v_add_f16_e32 v116, v61, v124
	s_waitcnt vmcnt(5)
	v_lshrrev_b32_e32 v122, 16, v106
	ds_read_u16 v123, v29 offset:196
	v_fmac_f16_e32 v131, 0x370e, v95
	v_fmac_f16_e32 v104, 0x370e, v95
	v_sub_f16_e32 v93, v105, v96
	v_add_f16_e32 v94, v121, v116
	v_add_f16_e32 v95, v96, v105
	ds_read_u16 v105, v29 offset:784
	v_sub_f16_e32 v96, v116, v121
	s_waitcnt lgkmcnt(3)
	v_mul_f16_e32 v116, v122, v135
	s_waitcnt vmcnt(4)
	v_lshrrev_b32_e32 v121, 16, v119
	v_add_f16_e32 v103, v103, v124
	v_add_f16_e32 v61, v97, v120
	v_sub_f16_e32 v97, v120, v97
	v_lshrrev_b32_e32 v120, 16, v107
	v_lshrrev_b32_e32 v124, 16, v109
	;; [unrolled: 1-line block ×3, first 2 shown]
	v_fma_f16 v116, v52, v106, -v116
	v_lshrrev_b32_e32 v126, 16, v118
	v_mul_f16_e32 v127, v121, v72
	v_mul_f16_e32 v72, v119, v72
	v_mul_f16_e32 v106, v106, v135
	v_mul_f16_e32 v128, v124, v101
	v_mul_f16_e32 v132, v125, v129
	s_waitcnt lgkmcnt(2)
	v_mul_f16_e32 v133, v120, v140
	v_mul_f16_e32 v134, v126, v100
	v_fma_f16 v127, v54, v119, -v127
	v_fmac_f16_e32 v72, v54, v121
	v_mul_f16_e32 v54, v118, v100
	v_mul_f16_e32 v100, v107, v140
	v_fmac_f16_e32 v106, v52, v122
	v_mul_f16_e32 v52, v108, v129
	v_mul_f16_e32 v101, v109, v101
	v_fma_f16 v128, v50, v109, -v128
	v_fma_f16 v132, v49, v108, -v132
	v_fma_f16 v133, v53, v107, -v133
	v_fma_f16 v134, v51, v118, -v134
	v_fmac_f16_e32 v54, v51, v126
	v_fmac_f16_e32 v100, v53, v120
	;; [unrolled: 1-line block ×4, first 2 shown]
	v_sub_f16_e32 v92, v103, v104
	v_sub_f16_e32 v136, v128, v132
	;; [unrolled: 1-line block ×3, first 2 shown]
	v_add_f16_e32 v49, v106, v72
	v_add_f16_e32 v50, v100, v54
	;; [unrolled: 1-line block ×4, first 2 shown]
	v_sub_f16_e32 v119, v116, v127
	v_add_f16_e32 v118, v136, v135
	v_add_f16_e32 v107, v49, v50
	;; [unrolled: 1-line block ×3, first 2 shown]
	v_sub_f16_e32 v109, v104, v50
	v_add_f16_e32 v122, v133, v134
	v_add_f16_e32 v124, v128, v132
	v_sub_f16_e32 v51, v136, v135
	v_sub_f16_e32 v103, v119, v136
	v_add_f16_e32 v107, v104, v107
	v_sub_f16_e32 v104, v49, v104
	v_mul_f16_e32 v109, 0x2b26, v109
	v_add_f16_e32 v118, v119, v118
	v_add_f16_e32 v125, v116, v122
	v_sub_f16_e32 v126, v124, v122
	v_sub_f16_e32 v52, v101, v52
	;; [unrolled: 1-line block ×5, first 2 shown]
	v_mul_f16_e32 v51, 0xb846, v51
	ds_read_u16 v120, v29 offset:98
	s_waitcnt lgkmcnt(2)
	v_add_f16_e32 v121, v123, v107
	v_fmamk_f16 v123, v104, 0x3a52, v109
	v_mul_f16_e32 v104, 0x3a52, v104
	v_add_f16_e32 v125, v124, v125
	v_sub_f16_e32 v100, v116, v124
	v_mul_f16_e32 v101, 0x2b26, v126
	v_sub_f16_e32 v106, v52, v54
	v_sub_f16_e32 v127, v72, v52
	v_add_f16_e32 v52, v52, v54
	v_mul_f16_e32 v129, 0x3b00, v119
	v_sub_f16_e32 v49, v50, v49
	v_sub_f16_e32 v54, v54, v72
	v_add_f16_e32 v55, v117, v102
	v_sub_f16_e32 v102, v102, v117
	v_fmamk_f16 v117, v103, 0x3574, v51
	v_fmamk_f16 v107, v107, 0xbcab, v121
	v_add_f16_e32 v45, v45, v125
	v_fmamk_f16 v126, v100, 0x3a52, v101
	v_mul_f16_e32 v106, 0xb846, v106
	v_mul_f16_e32 v100, 0x3a52, v100
	v_add_f16_e32 v52, v72, v52
	v_sub_f16_e32 v50, v122, v116
	v_fma_f16 v72, v103, 0xb574, -v129
	v_fma_f16 v103, v49, 0xb9e0, -v104
	v_mul_f16_e32 v104, 0x3b00, v54
	v_fma_f16 v49, v49, 0x39e0, -v109
	v_fma_f16 v51, v119, 0x3b00, -v51
	v_fmamk_f16 v125, v125, 0xbcab, v45
	v_fmamk_f16 v128, v127, 0x3574, v106
	v_fma_f16 v100, v50, 0xb9e0, -v100
	v_fmac_f16_e32 v72, 0x370e, v118
	v_add_f16_e32 v103, v103, v107
	v_fma_f16 v104, v127, 0xb574, -v104
	v_fma_f16 v54, v54, 0x3b00, -v106
	;; [unrolled: 1-line block ×3, first 2 shown]
	v_add_f16_e32 v49, v49, v107
	v_fmac_f16_e32 v51, 0x370e, v118
	v_add_f16_e32 v123, v123, v107
	v_fmac_f16_e32 v128, 0x370e, v52
	v_fmac_f16_e32 v104, 0x370e, v52
	;; [unrolled: 1-line block ×3, first 2 shown]
	v_add_f16_e32 v50, v50, v125
	v_add_f16_e32 v52, v72, v103
	v_sub_f16_e32 v106, v49, v51
	s_waitcnt vmcnt(3)
	v_lshrrev_b32_e32 v107, 16, v12
	v_add_f16_e32 v49, v51, v49
	v_sub_f16_e32 v51, v103, v72
	v_lshrrev_b32_e32 v72, 16, v13
	s_waitcnt vmcnt(2)
	v_lshrrev_b32_e32 v103, 16, v26
	v_lshrrev_b32_e32 v122, 16, v25
	v_sub_f16_e32 v60, v130, v131
	v_add_f16_e32 v108, v131, v130
	v_fmac_f16_e32 v117, 0x370e, v118
	v_add_f16_e32 v126, v126, v125
	v_add_f16_e32 v100, v100, v125
	;; [unrolled: 1-line block ×3, first 2 shown]
	v_sub_f16_e32 v50, v50, v54
	s_waitcnt lgkmcnt(1)
	v_mul_f16_e32 v54, v107, v105
	v_lshrrev_b32_e32 v118, 16, v15
	v_lshrrev_b32_e32 v119, 16, v14
	v_mul_f16_e32 v125, v103, v78
	v_mul_f16_e32 v130, v72, v99
	;; [unrolled: 1-line block ×3, first 2 shown]
	v_fma_f16 v54, v39, v12, -v54
	v_mul_f16_e32 v127, v118, v91
	v_mul_f16_e32 v129, v119, v98
	v_fma_f16 v125, v44, v26, -v125
	v_fma_f16 v130, v40, v13, -v130
	;; [unrolled: 1-line block ×3, first 2 shown]
	v_mul_f16_e32 v26, v26, v78
	v_mul_f16_e32 v12, v12, v105
	;; [unrolled: 1-line block ×4, first 2 shown]
	v_fma_f16 v127, v42, v15, -v127
	v_fma_f16 v129, v41, v14, -v129
	v_fmac_f16_e32 v26, v44, v103
	v_fmac_f16_e32 v12, v39, v107
	v_mul_f16_e32 v14, v14, v98
	v_mul_f16_e32 v15, v15, v91
	v_fmac_f16_e32 v25, v43, v122
	v_fmac_f16_e32 v13, v40, v72
	v_sub_f16_e32 v132, v127, v129
	v_sub_f16_e32 v105, v130, v131
	v_fmac_f16_e32 v14, v41, v119
	v_fmac_f16_e32 v15, v42, v118
	v_add_f16_e32 v40, v12, v26
	v_add_f16_e32 v41, v13, v25
	v_sub_f16_e32 v101, v100, v104
	v_sub_f16_e32 v78, v54, v125
	v_add_f16_e32 v42, v104, v100
	v_add_f16_e32 v44, v15, v14
	;; [unrolled: 1-line block ×5, first 2 shown]
	v_sub_f16_e32 v39, v132, v105
	v_sub_f16_e32 v43, v78, v132
	;; [unrolled: 1-line block ×3, first 2 shown]
	v_add_f16_e32 v72, v44, v72
	v_add_f16_e32 v54, v54, v125
	;; [unrolled: 1-line block ×5, first 2 shown]
	v_sub_f16_e32 v14, v15, v14
	v_sub_f16_e32 v13, v13, v25
	;; [unrolled: 1-line block ×4, first 2 shown]
	v_mul_f16_e32 v39, 0xb846, v39
	s_waitcnt lgkmcnt(0)
	v_add_f16_e32 v103, v120, v72
	v_add_f16_e32 v118, v54, v104
	v_sub_f16_e32 v119, v117, v104
	v_sub_f16_e32 v25, v14, v13
	;; [unrolled: 1-line block ×3, first 2 shown]
	v_add_f16_e32 v14, v14, v13
	v_mul_f16_e32 v120, 0x3b00, v78
	v_sub_f16_e32 v13, v13, v12
	v_fmamk_f16 v99, v43, 0x3574, v39
	v_add_f16_e32 v118, v117, v118
	v_sub_f16_e32 v117, v54, v117
	v_mul_f16_e32 v15, 0x2b26, v119
	v_mul_f16_e32 v25, 0xb846, v25
	v_add_f16_e32 v12, v12, v14
	v_fma_f16 v14, v43, 0xb574, -v120
	v_mul_f16_e32 v43, 0x3b00, v13
	v_sub_f16_e32 v98, v44, v41
	v_sub_f16_e32 v44, v40, v44
	v_add_f16_e32 v38, v38, v118
	v_fmamk_f16 v26, v117, 0x3a52, v15
	v_mul_f16_e32 v117, 0x3a52, v117
	v_fmamk_f16 v122, v105, 0x3574, v25
	v_sub_f16_e32 v40, v41, v40
	v_sub_f16_e32 v41, v104, v54
	v_fma_f16 v43, v105, 0xb574, -v43
	v_fma_f16 v13, v13, 0x3b00, -v25
	v_sub_f16_e32 v116, v126, v128
	v_add_f16_e32 v91, v128, v126
	v_fmamk_f16 v118, v118, 0xbcab, v38
	v_fmac_f16_e32 v122, 0x370e, v12
	v_fma_f16 v54, v41, 0xb9e0, -v117
	v_fmac_f16_e32 v43, 0x370e, v12
	v_fmac_f16_e32 v13, 0x370e, v12
	v_fma_f16 v15, v41, 0x39e0, -v15
	v_add_f16_e32 v26, v26, v118
	s_waitcnt vmcnt(1)
	v_lshrrev_b32_e32 v12, 16, v110
	v_add_f16_e32 v54, v54, v118
	v_lshrrev_b32_e32 v25, 16, v111
	s_waitcnt vmcnt(0)
	v_lshrrev_b32_e32 v120, 16, v115
	v_lshrrev_b32_e32 v117, 16, v114
	;; [unrolled: 1-line block ×3, first 2 shown]
	v_mul_f16_e32 v105, v12, v80
	v_add_f16_e32 v15, v15, v118
	v_mul_f16_e32 v128, v120, v74
	v_mul_f16_e32 v74, v115, v74
	;; [unrolled: 1-line block ×5, first 2 shown]
	v_fma_f16 v118, v37, v115, -v128
	v_fmac_f16_e32 v74, v37, v120
	v_mul_f16_e32 v37, v114, v75
	v_mul_f16_e32 v75, v111, v81
	ds_read_u16 v29, v29
	v_lshrrev_b32_e32 v41, 16, v113
	v_mul_f16_e32 v125, v104, v79
	v_mul_f16_e32 v126, v25, v81
	v_fma_f16 v105, v34, v110, -v105
	v_fmac_f16_e32 v80, v34, v12
	v_mul_f16_e32 v12, v112, v79
	v_mul_f16_e32 v34, v113, v76
	v_fmac_f16_e32 v37, v36, v117
	v_fmac_f16_e32 v75, v32, v25
	v_fmamk_f16 v107, v44, 0x3a52, v98
	v_mul_f16_e32 v44, 0x3a52, v44
	v_mul_f16_e32 v123, v41, v76
	v_fma_f16 v125, v33, v112, -v125
	v_fma_f16 v126, v32, v111, -v126
	v_add_f16_e32 v32, v80, v74
	v_fmac_f16_e32 v12, v33, v104
	v_fmac_f16_e32 v34, v35, v41
	v_add_f16_e32 v33, v75, v37
	v_fmamk_f16 v72, v72, 0xbcab, v103
	v_fma_f16 v44, v40, 0xb9e0, -v44
	v_fma_f16 v40, v40, 0x39e0, -v98
	v_sub_f16_e32 v98, v54, v43
	v_fma_f16 v123, v35, v113, -v123
	v_add_f16_e32 v35, v43, v54
	v_add_f16_e32 v41, v34, v12
	v_add_f16_e32 v43, v32, v33
	v_fmac_f16_e32 v99, 0x370e, v100
	v_add_f16_e32 v107, v107, v72
	v_fma_f16 v127, v36, v114, -v127
	v_add_f16_e32 v79, v105, v118
	v_add_f16_e32 v43, v41, v43
	v_fma_f16 v39, v78, 0x3b00, -v39
	v_add_f16_e32 v119, v99, v107
	v_sub_f16_e32 v54, v107, v99
	v_add_f16_e32 v81, v126, v127
	s_waitcnt lgkmcnt(0)
	v_add_f16_e32 v99, v29, v43
	v_add_f16_e32 v29, v123, v125
	;; [unrolled: 1-line block ×3, first 2 shown]
	v_fmac_f16_e32 v39, 0x370e, v100
	v_add_f16_e32 v104, v79, v81
	v_sub_f16_e32 v128, v123, v125
	v_sub_f16_e32 v107, v29, v81
	;; [unrolled: 1-line block ×4, first 2 shown]
	v_add_f16_e32 v104, v29, v104
	v_sub_f16_e32 v34, v75, v37
	v_sub_f16_e32 v29, v79, v29
	v_mul_f16_e32 v37, 0x2b26, v107
	v_sub_f16_e32 v74, v80, v74
	v_fmac_f16_e32 v14, 0x370e, v100
	v_add_f16_e32 v44, v44, v72
	v_sub_f16_e32 v72, v26, v122
	v_sub_f16_e32 v100, v40, v39
	v_add_f16_e32 v130, v13, v15
	v_add_f16_e32 v39, v39, v40
	v_sub_f16_e32 v40, v105, v118
	v_sub_f16_e32 v15, v15, v13
	;; [unrolled: 1-line block ×3, first 2 shown]
	v_add_f16_e32 v25, v128, v129
	v_add_f16_e32 v76, v122, v26
	v_sub_f16_e32 v26, v41, v33
	v_sub_f16_e32 v41, v32, v41
	v_add_f16_e32 v27, v27, v104
	v_sub_f16_e32 v75, v12, v34
	v_fmamk_f16 v80, v29, 0x3a52, v37
	v_sub_f16_e32 v107, v74, v12
	v_mul_f16_e32 v29, 0x3a52, v29
	v_add_f16_e32 v12, v12, v34
	v_sub_f16_e32 v32, v33, v32
	v_sub_f16_e32 v33, v81, v79
	;; [unrolled: 1-line block ×3, first 2 shown]
	v_add_f16_e32 v78, v14, v44
	v_sub_f16_e32 v14, v44, v14
	v_sub_f16_e32 v44, v40, v128
	v_mul_f16_e32 v13, 0xb846, v13
	v_add_f16_e32 v25, v40, v25
	v_mul_f16_e32 v26, 0x2b26, v26
	v_mul_f16_e32 v105, 0x3a52, v41
	v_fmamk_f16 v104, v104, 0xbcab, v27
	v_mul_f16_e32 v75, 0xb846, v75
	v_sub_f16_e32 v40, v129, v40
	v_fma_f16 v29, v33, 0xb9e0, -v29
	v_mul_f16_e32 v79, 0x3b00, v34
	v_fmamk_f16 v36, v44, 0x3574, v13
	v_fmamk_f16 v41, v41, 0x3a52, v26
	;; [unrolled: 1-line block ×4, first 2 shown]
	v_add_f16_e32 v12, v74, v12
	v_fma_f16 v74, v32, 0xb9e0, -v105
	v_add_f16_e32 v81, v29, v104
	v_fma_f16 v79, v107, 0xb574, -v79
	v_fma_f16 v26, v32, 0x39e0, -v26
	v_fma_f16 v13, v40, 0x3b00, -v13
	v_fma_f16 v32, v34, 0x3b00, -v75
	v_fma_f16 v29, v33, 0x39e0, -v37
	v_mul_f16_e32 v112, 0x3b00, v40
	v_fmac_f16_e32 v111, 0x370e, v12
	v_fmac_f16_e32 v79, 0x370e, v12
	v_add_f16_e32 v26, v26, v43
	v_fmac_f16_e32 v13, 0x370e, v25
	v_fmac_f16_e32 v32, 0x370e, v12
	v_add_f16_e32 v12, v29, v104
	v_mov_b32_e32 v29, v16
	v_fma_f16 v44, v44, 0xb574, -v112
	v_add_f16_e32 v41, v41, v43
	v_add_f16_e32 v74, v74, v43
	v_sub_f16_e32 v40, v26, v13
	v_add_f16_e32 v43, v32, v12
	v_add_f16_e32 v75, v13, v26
	v_sub_f16_e32 v32, v12, v32
	v_lshlrev_b64 v[12:13], 2, v[28:29]
	v_fmac_f16_e32 v44, 0x370e, v25
	v_add_co_u32 v28, vcc_lo, s2, v30
	v_add_co_ci_u32_e32 v29, vcc_lo, s3, v31, vcc_lo
	v_fmac_f16_e32 v36, 0x370e, v25
	v_add_f16_e32 v80, v80, v104
	v_sub_f16_e32 v25, v74, v44
	v_add_f16_e32 v26, v79, v81
	v_add_co_u32 v12, vcc_lo, v28, v12
	v_add_co_ci_u32_e32 v13, vcc_lo, v29, v13, vcc_lo
	v_add_f16_e32 v110, v36, v41
	v_sub_f16_e32 v36, v41, v36
	v_add_f16_e32 v30, v111, v80
	v_pack_b32_f16 v31, v26, v25
	v_add_co_u32 v25, vcc_lo, 0x800, v12
	v_pack_b32_f16 v29, v27, v99
	v_add_co_ci_u32_e32 v26, vcc_lo, 0, v13, vcc_lo
	v_pack_b32_f16 v30, v30, v36
	v_add_co_u32 v27, vcc_lo, 0x1000, v12
	v_add_f16_e32 v34, v44, v74
	v_sub_f16_e32 v37, v81, v79
	v_pack_b32_f16 v32, v32, v75
	v_add_co_ci_u32_e32 v28, vcc_lo, 0, v13, vcc_lo
	v_pack_b32_f16 v36, v43, v40
	global_store_dword v[12:13], v29, off
	global_store_dword v[12:13], v30, off offset:1372
	global_store_dword v[25:26], v31, off offset:696
	;; [unrolled: 1-line block ×4, first 2 shown]
	v_add_co_u32 v29, vcc_lo, 0x1800, v12
	v_sub_f16_e32 v33, v80, v111
	v_pack_b32_f16 v34, v37, v34
	v_add_co_ci_u32_e32 v30, vcc_lo, 0, v13, vcc_lo
	v_add_co_u32 v31, vcc_lo, 0x2000, v12
	v_pack_b32_f16 v33, v33, v110
	v_add_co_ci_u32_e32 v32, vcc_lo, 0, v13, vcc_lo
	global_store_dword v[29:30], v34, off offset:716
	v_pack_b32_f16 v34, v38, v103
	v_pack_b32_f16 v36, v76, v54
	;; [unrolled: 1-line block ×3, first 2 shown]
	global_store_dword v[31:32], v33, off offset:40
	v_pack_b32_f16 v15, v15, v39
	global_store_dword v[12:13], v34, off offset:196
	global_store_dword v[12:13], v36, off offset:1568
	;; [unrolled: 1-line block ×3, first 2 shown]
	v_pack_b32_f16 v14, v130, v100
	v_pack_b32_f16 v33, v72, v119
	;; [unrolled: 1-line block ×3, first 2 shown]
	global_store_dword v[27:28], v15, off offset:216
	v_pack_b32_f16 v15, v98, v78
	global_store_dword v[27:28], v14, off offset:1588
	v_pack_b32_f16 v14, v91, v90
	global_store_dword v[29:30], v15, off offset:912
	global_store_dword v[31:32], v33, off offset:236
	;; [unrolled: 1-line block ×3, first 2 shown]
	v_pack_b32_f16 v15, v42, v51
	global_store_dword v[12:13], v14, off offset:1764
	v_mul_hi_u32 v14, 0xbf112a8b, v46
	v_pack_b32_f16 v33, v50, v49
	v_pack_b32_f16 v34, v109, v106
	global_store_dword v[25:26], v15, off offset:1088
	v_pack_b32_f16 v15, v101, v52
	v_pack_b32_f16 v35, v116, v124
	global_store_dword v[27:28], v33, off offset:412
	global_store_dword v[27:28], v34, off offset:1784
	;; [unrolled: 1-line block ×4, first 2 shown]
	v_lshrrev_b32_e32 v14, 8, v14
	v_pack_b32_f16 v33, v59, v58
	v_pack_b32_f16 v35, v53, v97
	;; [unrolled: 1-line block ×4, first 2 shown]
	v_mul_u32_u24_e32 v15, 0x80a, v14
	global_store_dword v[12:13], v33, off offset:588
	global_store_dword v[12:13], v34, off offset:1960
	;; [unrolled: 1-line block ×4, first 2 shown]
	v_pack_b32_f16 v33, v94, v93
	v_lshlrev_b64 v[14:15], 2, v[15:16]
	v_pack_b32_f16 v34, v92, v61
	v_pack_b32_f16 v35, v60, v55
	;; [unrolled: 1-line block ×5, first 2 shown]
	v_add_co_u32 v25, vcc_lo, v12, v14
	v_add_co_ci_u32_e32 v26, vcc_lo, v13, v15, vcc_lo
	v_pack_b32_f16 v1, v21, v10
	v_add_co_u32 v14, vcc_lo, 0x310, v25
	v_add_co_ci_u32_e32 v15, vcc_lo, 0, v26, vcc_lo
	global_store_dword v[27:28], v33, off offset:1980
	global_store_dword v[29:30], v34, off offset:1304
	;; [unrolled: 1-line block ×5, first 2 shown]
	v_mul_hi_u32 v27, 0xbf112a8b, v47
	v_add_co_u32 v14, vcc_lo, 0x800, v25
	v_pack_b32_f16 v29, v62, v89
	v_add_co_ci_u32_e32 v15, vcc_lo, 0, v26, vcc_lo
	v_pack_b32_f16 v30, v18, v17
	v_add_co_u32 v17, vcc_lo, 0x1000, v25
	v_lshrrev_b32_e32 v32, 8, v27
	global_store_dword v[14:15], v29, off offset:1480
	v_add_co_ci_u32_e32 v18, vcc_lo, 0, v26, vcc_lo
	v_add_co_u32 v27, vcc_lo, 0x1800, v25
	v_mul_u32_u24_e32 v15, 0x80a, v32
	v_pack_b32_f16 v31, v88, v87
	v_add_co_ci_u32_e32 v28, vcc_lo, 0, v26, vcc_lo
	v_pack_b32_f16 v33, v86, v85
	v_lshlrev_b64 v[14:15], 2, v[15:16]
	global_store_dword v[17:18], v30, off offset:804
	global_store_dword v[27:28], v31, off offset:128
	;; [unrolled: 1-line block ×3, first 2 shown]
	v_add_co_u32 v17, vcc_lo, 0x2000, v25
	v_add_co_ci_u32_e32 v18, vcc_lo, 0, v26, vcc_lo
	v_add_co_u32 v25, vcc_lo, v12, v14
	v_add_co_ci_u32_e32 v26, vcc_lo, v13, v15, vcc_lo
	v_mul_hi_u32 v15, 0xbf112a8b, v48
	v_pack_b32_f16 v27, v84, v77
	v_pack_b32_f16 v14, v24, v20
	;; [unrolled: 1-line block ×5, first 2 shown]
	global_store_dword v[17:18], v27, off offset:824
	v_add_co_u32 v17, vcc_lo, 0x3d4, v25
	v_lshrrev_b32_e32 v15, 8, v15
	v_add_co_ci_u32_e32 v18, vcc_lo, 0, v26, vcc_lo
	v_add_co_u32 v27, vcc_lo, 0x800, v25
	v_mul_u32_u24_e32 v15, 0x80a, v15
	v_add_co_ci_u32_e32 v28, vcc_lo, 0, v26, vcc_lo
	v_add_co_u32 v29, vcc_lo, 0x1000, v25
	global_store_dword v[25:26], v14, off offset:980
	v_lshlrev_b64 v[14:15], 2, v[15:16]
	v_add_co_ci_u32_e32 v30, vcc_lo, 0, v26, vcc_lo
	v_add_co_u32 v16, vcc_lo, 0x1800, v25
	global_store_dword v[17:18], v20, off offset:1372
	global_store_dword v[27:28], v24, off offset:1676
	;; [unrolled: 1-line block ×3, first 2 shown]
	v_add_co_ci_u32_e32 v17, vcc_lo, 0, v26, vcc_lo
	v_add_co_u32 v12, vcc_lo, v12, v14
	v_add_co_ci_u32_e32 v13, vcc_lo, v13, v15, vcc_lo
	v_add_co_u32 v14, vcc_lo, 0x2000, v25
	v_pack_b32_f16 v18, v66, v63
	v_pack_b32_f16 v20, v65, v23
	v_add_co_ci_u32_e32 v15, vcc_lo, 0, v26, vcc_lo
	v_pack_b32_f16 v24, v64, v22
	v_add_co_u32 v22, vcc_lo, 0x498, v12
	v_add_co_ci_u32_e32 v23, vcc_lo, 0, v13, vcc_lo
	global_store_dword v[16:17], v18, off offset:324
	global_store_dword v[16:17], v20, off offset:1696
	global_store_dword v[14:15], v24, off offset:1020
	global_store_dword v[12:13], v0, off offset:1176
	global_store_dword v[22:23], v1, off offset:1372
	v_add_co_u32 v0, vcc_lo, 0x800, v12
	v_add_co_ci_u32_e32 v1, vcc_lo, 0, v13, vcc_lo
	v_add_co_u32 v10, vcc_lo, 0x1000, v12
	v_pack_b32_f16 v6, v11, v6
	v_add_co_ci_u32_e32 v11, vcc_lo, 0, v13, vcc_lo
	v_pack_b32_f16 v14, v19, v8
	v_add_co_u32 v8, vcc_lo, 0x1800, v12
	v_pack_b32_f16 v4, v9, v4
	v_add_co_ci_u32_e32 v9, vcc_lo, 0, v13, vcc_lo
	v_pack_b32_f16 v5, v5, v2
	v_add_co_u32 v2, vcc_lo, 0x2000, v12
	v_pack_b32_f16 v7, v7, v3
	v_add_co_ci_u32_e32 v3, vcc_lo, 0, v13, vcc_lo
	global_store_dword v[0:1], v14, off offset:1872
	global_store_dword v[10:11], v6, off offset:1196
	;; [unrolled: 1-line block ×5, first 2 shown]
.LBB0_13:
	s_endpgm
	.section	.rodata,"a",@progbits
	.p2align	6, 0x0
	.amdhsa_kernel fft_rtc_fwd_len2401_factors_7_7_7_7_wgs_49_tpt_49_halfLds_half_ip_CI_unitstride_sbrr_dirReg
		.amdhsa_group_segment_fixed_size 0
		.amdhsa_private_segment_fixed_size 0
		.amdhsa_kernarg_size 88
		.amdhsa_user_sgpr_count 6
		.amdhsa_user_sgpr_private_segment_buffer 1
		.amdhsa_user_sgpr_dispatch_ptr 0
		.amdhsa_user_sgpr_queue_ptr 0
		.amdhsa_user_sgpr_kernarg_segment_ptr 1
		.amdhsa_user_sgpr_dispatch_id 0
		.amdhsa_user_sgpr_flat_scratch_init 0
		.amdhsa_user_sgpr_private_segment_size 0
		.amdhsa_wavefront_size32 1
		.amdhsa_uses_dynamic_stack 0
		.amdhsa_system_sgpr_private_segment_wavefront_offset 0
		.amdhsa_system_sgpr_workgroup_id_x 1
		.amdhsa_system_sgpr_workgroup_id_y 0
		.amdhsa_system_sgpr_workgroup_id_z 0
		.amdhsa_system_sgpr_workgroup_info 0
		.amdhsa_system_vgpr_workitem_id 0
		.amdhsa_next_free_vgpr 164
		.amdhsa_next_free_sgpr 21
		.amdhsa_reserve_vcc 1
		.amdhsa_reserve_flat_scratch 0
		.amdhsa_float_round_mode_32 0
		.amdhsa_float_round_mode_16_64 0
		.amdhsa_float_denorm_mode_32 3
		.amdhsa_float_denorm_mode_16_64 3
		.amdhsa_dx10_clamp 1
		.amdhsa_ieee_mode 1
		.amdhsa_fp16_overflow 0
		.amdhsa_workgroup_processor_mode 1
		.amdhsa_memory_ordered 1
		.amdhsa_forward_progress 0
		.amdhsa_shared_vgpr_count 0
		.amdhsa_exception_fp_ieee_invalid_op 0
		.amdhsa_exception_fp_denorm_src 0
		.amdhsa_exception_fp_ieee_div_zero 0
		.amdhsa_exception_fp_ieee_overflow 0
		.amdhsa_exception_fp_ieee_underflow 0
		.amdhsa_exception_fp_ieee_inexact 0
		.amdhsa_exception_int_div_zero 0
	.end_amdhsa_kernel
	.text
.Lfunc_end0:
	.size	fft_rtc_fwd_len2401_factors_7_7_7_7_wgs_49_tpt_49_halfLds_half_ip_CI_unitstride_sbrr_dirReg, .Lfunc_end0-fft_rtc_fwd_len2401_factors_7_7_7_7_wgs_49_tpt_49_halfLds_half_ip_CI_unitstride_sbrr_dirReg
                                        ; -- End function
	.section	.AMDGPU.csdata,"",@progbits
; Kernel info:
; codeLenInByte = 27156
; NumSgprs: 23
; NumVgprs: 164
; ScratchSize: 0
; MemoryBound: 0
; FloatMode: 240
; IeeeMode: 1
; LDSByteSize: 0 bytes/workgroup (compile time only)
; SGPRBlocks: 2
; VGPRBlocks: 20
; NumSGPRsForWavesPerEU: 23
; NumVGPRsForWavesPerEU: 164
; Occupancy: 5
; WaveLimiterHint : 1
; COMPUTE_PGM_RSRC2:SCRATCH_EN: 0
; COMPUTE_PGM_RSRC2:USER_SGPR: 6
; COMPUTE_PGM_RSRC2:TRAP_HANDLER: 0
; COMPUTE_PGM_RSRC2:TGID_X_EN: 1
; COMPUTE_PGM_RSRC2:TGID_Y_EN: 0
; COMPUTE_PGM_RSRC2:TGID_Z_EN: 0
; COMPUTE_PGM_RSRC2:TIDIG_COMP_CNT: 0
	.text
	.p2alignl 6, 3214868480
	.fill 48, 4, 3214868480
	.type	__hip_cuid_72213a21429f04b3,@object ; @__hip_cuid_72213a21429f04b3
	.section	.bss,"aw",@nobits
	.globl	__hip_cuid_72213a21429f04b3
__hip_cuid_72213a21429f04b3:
	.byte	0                               ; 0x0
	.size	__hip_cuid_72213a21429f04b3, 1

	.ident	"AMD clang version 19.0.0git (https://github.com/RadeonOpenCompute/llvm-project roc-6.4.0 25133 c7fe45cf4b819c5991fe208aaa96edf142730f1d)"
	.section	".note.GNU-stack","",@progbits
	.addrsig
	.addrsig_sym __hip_cuid_72213a21429f04b3
	.amdgpu_metadata
---
amdhsa.kernels:
  - .args:
      - .actual_access:  read_only
        .address_space:  global
        .offset:         0
        .size:           8
        .value_kind:     global_buffer
      - .offset:         8
        .size:           8
        .value_kind:     by_value
      - .actual_access:  read_only
        .address_space:  global
        .offset:         16
        .size:           8
        .value_kind:     global_buffer
      - .actual_access:  read_only
        .address_space:  global
        .offset:         24
        .size:           8
        .value_kind:     global_buffer
      - .offset:         32
        .size:           8
        .value_kind:     by_value
      - .actual_access:  read_only
        .address_space:  global
        .offset:         40
        .size:           8
        .value_kind:     global_buffer
      - .actual_access:  read_only
        .address_space:  global
        .offset:         48
        .size:           8
        .value_kind:     global_buffer
      - .offset:         56
        .size:           4
        .value_kind:     by_value
      - .actual_access:  read_only
        .address_space:  global
        .offset:         64
        .size:           8
        .value_kind:     global_buffer
      - .actual_access:  read_only
        .address_space:  global
        .offset:         72
        .size:           8
        .value_kind:     global_buffer
      - .address_space:  global
        .offset:         80
        .size:           8
        .value_kind:     global_buffer
    .group_segment_fixed_size: 0
    .kernarg_segment_align: 8
    .kernarg_segment_size: 88
    .language:       OpenCL C
    .language_version:
      - 2
      - 0
    .max_flat_workgroup_size: 49
    .name:           fft_rtc_fwd_len2401_factors_7_7_7_7_wgs_49_tpt_49_halfLds_half_ip_CI_unitstride_sbrr_dirReg
    .private_segment_fixed_size: 0
    .sgpr_count:     23
    .sgpr_spill_count: 0
    .symbol:         fft_rtc_fwd_len2401_factors_7_7_7_7_wgs_49_tpt_49_halfLds_half_ip_CI_unitstride_sbrr_dirReg.kd
    .uniform_work_group_size: 1
    .uses_dynamic_stack: false
    .vgpr_count:     164
    .vgpr_spill_count: 0
    .wavefront_size: 32
    .workgroup_processor_mode: 1
amdhsa.target:   amdgcn-amd-amdhsa--gfx1030
amdhsa.version:
  - 1
  - 2
...

	.end_amdgpu_metadata
